;; amdgpu-corpus repo=LLNL/RAJAPerf kind=compiled arch=gfx90a opt=O3
	.text
	.amdgcn_target "amdgcn-amd-amdhsa--gfx90a"
	.amdhsa_code_object_version 6
	.section	.text._ZN8rajaperf4apps10FEMSweep3DILm64EEEvPdS2_S2_S2_S2_S2_lllPlS3_S3_S3_S3_S3_S3_S3_S3_,"axG",@progbits,_ZN8rajaperf4apps10FEMSweep3DILm64EEEvPdS2_S2_S2_S2_S2_lllPlS3_S3_S3_S3_S3_S3_S3_S3_,comdat
	.protected	_ZN8rajaperf4apps10FEMSweep3DILm64EEEvPdS2_S2_S2_S2_S2_lllPlS3_S3_S3_S3_S3_S3_S3_S3_ ; -- Begin function _ZN8rajaperf4apps10FEMSweep3DILm64EEEvPdS2_S2_S2_S2_S2_lllPlS3_S3_S3_S3_S3_S3_S3_S3_
	.globl	_ZN8rajaperf4apps10FEMSweep3DILm64EEEvPdS2_S2_S2_S2_S2_lllPlS3_S3_S3_S3_S3_S3_S3_S3_
	.p2align	8
	.type	_ZN8rajaperf4apps10FEMSweep3DILm64EEEvPdS2_S2_S2_S2_S2_lllPlS3_S3_S3_S3_S3_S3_S3_S3_,@function
_ZN8rajaperf4apps10FEMSweep3DILm64EEEvPdS2_S2_S2_S2_S2_lllPlS3_S3_S3_S3_S3_S3_S3_S3_: ; @_ZN8rajaperf4apps10FEMSweep3DILm64EEEvPdS2_S2_S2_S2_S2_lllPlS3_S3_S3_S3_S3_S3_S3_S3_
; %bb.0:
	s_load_dwordx16 s[8:23], s[4:5], 0x40
	s_load_dwordx16 s[36:51], s[4:5], 0x0
	s_mov_b32 s2, s7
	s_mov_b32 s3, 0
	s_lshl_b64 s[0:1], s[2:3], 3
	s_waitcnt lgkmcnt(0)
	s_add_u32 s24, s10, s0
	s_addc_u32 s25, s11, s1
	s_add_u32 s12, s12, s0
	s_addc_u32 s13, s13, s1
	s_mul_i32 s0, s7, s49
	s_mul_hi_u32 s1, s7, s48
	s_add_i32 s1, s1, s0
	s_mul_i32 s0, s7, s48
	s_lshl_b64 s[10:11], s[0:1], 3
	s_add_u32 s16, s16, s10
	s_addc_u32 s17, s17, s11
	s_load_dwordx2 s[10:11], s[16:17], 0x0
	v_mov_b32_e32 v2, 0
	v_mov_b32_e32 v3, 0x41d00000
	s_waitcnt lgkmcnt(0)
	s_add_u32 s10, s10, s0
	s_addc_u32 s11, s11, s1
	s_lshl_b64 s[10:11], s[10:11], 9
	s_add_u32 s10, s38, s10
	s_addc_u32 s11, s39, s11
	s_load_dwordx2 s[10:11], s[10:11], 0x0
	s_waitcnt lgkmcnt(0)
	v_cmp_nlt_f64_e64 s[26:27], |s[10:11]|, v[2:3]
	s_and_b64 vcc, exec, s[26:27]
	s_cbranch_vccz .LBB0_2
; %bb.1:
	v_mov_b32_e32 v6, 0
	s_and_b32 s7, s11, 0x7fffffff
	v_mov_b32_e32 v7, 0x7b000000
	v_mov_b32_e32 v1, 0xffffff80
	v_ldexp_f64 v[8:9], |s[10:11]|, v1
	v_mov_b32_e32 v1, s7
	v_cmp_ge_f64_e64 vcc, |s[10:11]|, v[6:7]
	v_cndmask_b32_e32 v7, v1, v9, vcc
	v_mov_b32_e32 v1, s10
	v_trig_preop_f64 v[2:3], |s[10:11]|, 0
	v_cndmask_b32_e32 v6, v1, v8, vcc
	v_trig_preop_f64 v[4:5], |s[10:11]|, 1
	v_mul_f64 v[10:11], v[2:3], v[6:7]
	v_mul_f64 v[8:9], v[4:5], v[6:7]
	v_fma_f64 v[2:3], v[2:3], v[6:7], -v[10:11]
	v_add_f64 v[12:13], v[8:9], v[2:3]
	v_add_f64 v[14:15], v[10:11], v[12:13]
	s_mov_b32 s26, 0
	v_ldexp_f64 v[16:17], v[14:15], -2
	s_mov_b32 s27, 0x7ff00000
	v_fract_f64_e32 v[18:19], v[16:17]
	v_cmp_neq_f64_e64 vcc, |v[16:17]|, s[26:27]
	v_cndmask_b32_e32 v17, 0, v19, vcc
	v_cndmask_b32_e32 v16, 0, v18, vcc
	v_add_f64 v[18:19], v[12:13], -v[8:9]
	v_add_f64 v[2:3], v[2:3], -v[18:19]
	;; [unrolled: 1-line block ×4, first 2 shown]
	v_fma_f64 v[4:5], v[4:5], v[6:7], -v[8:9]
	v_trig_preop_f64 v[8:9], |s[10:11]|, 2
	v_add_f64 v[2:3], v[2:3], v[18:19]
	v_mul_f64 v[18:19], v[8:9], v[6:7]
	v_add_f64 v[20:21], v[18:19], v[4:5]
	v_add_f64 v[22:23], v[20:21], v[2:3]
	v_add_f64 v[10:11], v[14:15], -v[10:11]
	v_add_f64 v[14:15], v[22:23], -v[20:21]
	v_add_f64 v[2:3], v[2:3], -v[14:15]
	v_add_f64 v[14:15], v[22:23], -v[14:15]
	v_add_f64 v[14:15], v[20:21], -v[14:15]
	v_add_f64 v[2:3], v[2:3], v[14:15]
	v_add_f64 v[14:15], v[20:21], -v[18:19]
	v_add_f64 v[4:5], v[4:5], -v[14:15]
	;; [unrolled: 1-line block ×4, first 2 shown]
	v_add_f64 v[4:5], v[4:5], v[14:15]
	v_add_f64 v[10:11], v[12:13], -v[10:11]
	v_add_f64 v[2:3], v[4:5], v[2:3]
	v_fma_f64 v[4:5], v[8:9], v[6:7], -v[18:19]
	v_add_f64 v[12:13], v[10:11], v[22:23]
	v_add_f64 v[2:3], v[4:5], v[2:3]
	v_ldexp_f64 v[4:5], v[16:17], 2
	v_add_f64 v[6:7], v[12:13], v[4:5]
	v_cmp_gt_f64_e32 vcc, 0, v[6:7]
	s_and_b64 s[28:29], vcc, exec
	s_cselect_b32 s29, 0x40100000, 0
	s_mov_b32 s28, s3
	v_add_f64 v[4:5], v[4:5], s[28:29]
	v_add_f64 v[6:7], v[12:13], v[4:5]
	v_cvt_i32_f64_e32 v1, v[6:7]
	v_cvt_f64_i32_e32 v[6:7], v1
	v_add_f64 v[4:5], v[4:5], -v[6:7]
	v_add_f64 v[6:7], v[12:13], v[4:5]
	v_cmp_le_f64_e32 vcc, 0.5, v[6:7]
	v_readfirstlane_b32 s7, v1
	s_cmp_lg_u64 vcc, 0
	v_add_f64 v[10:11], v[12:13], -v[10:11]
	s_addc_u32 s7, s7, 0
	v_add_f64 v[10:11], v[22:23], -v[10:11]
	v_add_f64 v[4:5], v[6:7], -v[4:5]
	s_and_b64 s[28:29], vcc, exec
	v_add_f64 v[2:3], v[10:11], v[2:3]
	v_add_f64 v[4:5], v[12:13], -v[4:5]
	s_cselect_b32 s29, 0x3ff00000, 0
	s_mov_b32 s28, s3
	v_add_f64 v[2:3], v[2:3], v[4:5]
	v_add_f64 v[4:5], v[6:7], -s[28:29]
	v_add_f64 v[6:7], v[4:5], v[2:3]
	s_mov_b32 s28, 0x54442d18
	v_add_f64 v[4:5], v[6:7], -v[4:5]
	s_mov_b32 s29, 0x3ff921fb
	v_add_f64 v[2:3], v[2:3], -v[4:5]
	v_mul_f64 v[4:5], v[6:7], s[28:29]
	s_mov_b32 s30, 0x33145c07
	v_fma_f64 v[8:9], v[6:7], s[28:29], -v[4:5]
	s_mov_b32 s31, 0x3c91a626
	v_fmac_f64_e32 v[8:9], s[30:31], v[6:7]
	v_fmac_f64_e32 v[8:9], s[28:29], v[2:3]
	v_add_f64 v[2:3], v[4:5], v[8:9]
	v_add_f64 v[4:5], v[2:3], -v[4:5]
	v_add_f64 v[4:5], v[8:9], -v[4:5]
	s_load_dwordx2 s[28:29], s[24:25], 0x0
	s_cbranch_execz .LBB0_3
	s_branch .LBB0_4
.LBB0_2:
                                        ; implicit-def: $sgpr7
                                        ; implicit-def: $vgpr2_vgpr3
                                        ; implicit-def: $vgpr4_vgpr5
	s_load_dwordx2 s[28:29], s[24:25], 0x0
.LBB0_3:
	v_mov_b32_e32 v2, 0x6dc9c883
	v_mov_b32_e32 v3, 0x3fe45f30
	v_mul_f64 v[2:3], |s[10:11]|, v[2:3]
	s_mov_b32 s24, 0x54442d18
	v_rndne_f64_e32 v[6:7], v[2:3]
	s_mov_b32 s25, 0xbff921fb
	v_pk_mov_b32 v[2:3], s[10:11], s[10:11] op_sel:[0,1]
	v_fma_f64 v[2:3], v[6:7], s[24:25], |v[2:3]|
	s_mov_b32 s25, 0xbc91a626
	s_mov_b32 s24, 0x33145c00
	v_mul_f64 v[8:9], v[6:7], s[24:25]
	v_add_f64 v[12:13], v[2:3], v[8:9]
	v_fma_f64 v[4:5], s[24:25], v[6:7], v[2:3]
	s_mov_b32 s25, 0x3c91a626
	v_add_f64 v[2:3], v[2:3], -v[12:13]
	v_fma_f64 v[10:11], s[24:25], v[6:7], v[8:9]
	v_add_f64 v[2:3], v[2:3], v[8:9]
	v_add_f64 v[8:9], v[12:13], -v[4:5]
	v_add_f64 v[2:3], v[8:9], v[2:3]
	s_mov_b32 s24, 0x252049c0
	v_add_f64 v[8:9], v[2:3], -v[10:11]
	s_mov_b32 s25, 0xb97b839a
	v_fmac_f64_e32 v[8:9], s[24:25], v[6:7]
	v_add_f64 v[2:3], v[4:5], v[8:9]
	v_add_f64 v[4:5], v[2:3], -v[4:5]
	v_cvt_i32_f64_e32 v1, v[6:7]
	v_add_f64 v[4:5], v[8:9], -v[4:5]
	v_readfirstlane_b32 s7, v1
.LBB0_4:
	s_waitcnt lgkmcnt(0)
	v_cmp_lt_i64_e64 s[24:25], s[28:29], 1
	s_and_b64 vcc, exec, s[24:25]
	s_cbranch_vccnz .LBB0_14
; %bb.5:
	s_mov_b32 s24, 0x46cc5e42
	v_mul_f64 v[6:7], v[2:3], v[2:3]
	v_mov_b32_e32 v14, 0x9037ab78
	v_mov_b32_e32 v15, 0x3e21eeb6
	s_mov_b32 s25, 0xbda907db
	v_mul_f64 v[8:9], v[6:7], 0.5
	v_fmac_f64_e32 v[14:15], s[24:25], v[6:7]
	v_mov_b32_e32 v16, 0xa17f65f6
	v_mov_b32_e32 v17, 0xbe927e4f
	v_add_f64 v[10:11], -v[8:9], 1.0
	v_fmac_f64_e32 v[16:17], v[6:7], v[14:15]
	v_mov_b32_e32 v14, 0x19f4ec90
	v_mov_b32_e32 v15, 0x3efa01a0
	v_add_f64 v[12:13], -v[10:11], 1.0
	v_fmac_f64_e32 v[14:15], v[6:7], v[16:17]
	v_mov_b32_e32 v16, 0x16c16967
	v_mov_b32_e32 v17, 0xbf56c16c
	v_add_f64 v[8:9], v[12:13], -v[8:9]
	v_fmac_f64_e32 v[16:17], v[6:7], v[14:15]
	v_mov_b32_e32 v14, 0x55555555
	v_mov_b32_e32 v15, 0x3fa55555
	v_mul_f64 v[12:13], v[6:7], v[6:7]
	v_fmac_f64_e32 v[14:15], v[6:7], v[16:17]
	v_fma_f64 v[8:9], v[2:3], -v[4:5], v[8:9]
	v_fmac_f64_e32 v[8:9], v[12:13], v[14:15]
	s_mov_b32 s26, 0xf9a43bb8
	v_add_f64 v[8:9], v[10:11], v[8:9]
	v_mov_b32_e32 v10, 0xb42fdfa7
	v_mov_b32_e32 v11, 0xbe5ae600
	s_mov_b32 s27, 0x3de5e0b2
	v_fmac_f64_e32 v[10:11], s[26:27], v[6:7]
	v_mov_b32_e32 v12, 0x796cde01
	v_mov_b32_e32 v13, 0x3ec71de3
	v_fmac_f64_e32 v[12:13], v[6:7], v[10:11]
	v_mov_b32_e32 v10, 0x19e83e5c
	v_mov_b32_e32 v11, 0xbf2a01a0
	;; [unrolled: 3-line block ×3, first 2 shown]
	v_fmac_f64_e32 v[12:13], v[6:7], v[10:11]
	v_mul_f64 v[10:11], v[2:3], -v[6:7]
	v_mul_f64 v[14:15], v[4:5], 0.5
	s_mov_b32 s24, 0x55555555
	v_fmac_f64_e32 v[14:15], v[10:11], v[12:13]
	s_mov_b32 s25, 0xbfc55555
	v_fma_f64 v[4:5], v[6:7], v[14:15], -v[4:5]
	s_bitcmp0_b32 s7, 0
	v_fmac_f64_e32 v[4:5], s[24:25], v[10:11]
	s_cselect_b64 vcc, -1, 0
	s_lshl_b32 s3, s7, 30
	v_add_f64 v[2:3], v[2:3], -v[4:5]
	s_xor_b32 s3, s3, s11
	v_cndmask_b32_e32 v1, v8, v2, vcc
	v_cndmask_b32_e32 v2, v9, v3, vcc
	s_and_b32 s3, s3, 0x80000000
	s_load_dwordx2 s[12:13], s[12:13], 0x0
	v_xor_b32_e32 v3, s3, v2
	s_load_dwordx4 s[24:27], s[4:5], 0x80
	s_mul_i32 s3, s0, s51
	s_mul_hi_u32 s4, s0, s50
	s_add_i32 s3, s4, s3
	s_mul_i32 s4, s1, s50
	v_mov_b32_e32 v2, 0x1f8
	s_add_i32 s5, s3, s4
	s_mul_i32 s3, s2, s51
	s_mul_hi_u32 s7, s2, s50
	v_cmp_class_f64_e32 vcc, s[10:11], v2
	s_add_i32 s10, s7, s3
	s_mul_i32 s3, s6, s49
	s_mul_hi_u32 s7, s6, s48
	s_add_i32 s7, s7, s3
	s_mul_i32 s3, s2, s9
	s_mul_hi_u32 s9, s2, s8
	s_mul_i32 s11, s2, s50
	s_add_i32 s3, s9, s3
	s_mul_i32 s2, s2, s8
	s_waitcnt lgkmcnt(0)
	s_lshl_b64 s[8:9], s[12:13], 3
	s_add_u32 s33, s14, s8
	s_mul_i32 s4, s0, s50
	s_addc_u32 s50, s15, s9
	s_mul_i32 s8, s11, s49
	s_mul_hi_u32 s9, s11, s48
	s_mul_i32 s6, s6, s48
	s_mul_i32 s10, s10, s48
	s_add_i32 s8, s9, s8
	s_add_i32 s9, s8, s10
	s_mul_i32 s8, s11, s48
	s_lshl_b64 s[2:3], s[2:3], 8
	s_lshl_b64 s[10:11], s[6:7], 3
	;; [unrolled: 1-line block ×3, first 2 shown]
	s_add_u32 s48, s36, s12
	s_addc_u32 s34, s37, s13
	s_lshl_b64 s[12:13], s[0:1], 9
	s_add_u32 s49, s38, s12
	s_addc_u32 s12, s39, s13
	s_mul_i32 s1, s1, 48
	s_mul_hi_u32 s13, s0, 48
	s_add_i32 s13, s13, s1
	s_add_u32 s51, s40, s2
	s_mul_i32 s14, s0, 48
	s_addc_u32 s52, s41, s3
	s_lshl_b64 s[0:1], s[6:7], 6
	s_add_u32 s2, s42, s0
	s_addc_u32 s3, s43, s1
	s_lshl_b64 s[0:1], s[8:9], 6
	s_add_u32 s53, s2, s0
	s_addc_u32 s54, s3, s1
	s_add_u32 s44, s44, s10
	s_addc_u32 s45, s45, s11
	s_lshl_b64 s[0:1], s[4:5], 6
	v_cndmask_b32_e32 v2, 0, v1, vcc
	v_mov_b32_e32 v1, 0x7ff80000
	s_add_u32 s55, s2, s0
	v_cndmask_b32_e32 v3, v1, v3, vcc
	s_addc_u32 s56, s3, s1
	v_add_f64 v[2:3], v[2:3], -2.0
	s_add_u32 s14, s18, s14
	s_mov_b64 s[30:31], 0
	v_max_f64 v[170:171], v[2:3], 0
	v_mov_b32_e32 v1, 0
	s_addc_u32 s15, s19, s13
	v_mov_b32_e32 v184, s34
	v_mov_b32_e32 v185, s12
	s_mov_b64 s[18:19], 0
	s_branch .LBB0_7
.LBB0_6:                                ;   in Loop: Header=BB0_7 Depth=1
	s_or_b64 exec, exec, s[36:37]
	s_add_u32 s30, s34, s30
	s_addc_u32 s31, s35, s31
	s_add_u32 s18, s18, 1
	s_addc_u32 s19, s19, 0
	s_cmp_eq_u64 s[18:19], s[28:29]
	s_waitcnt lgkmcnt(0)
	; wave barrier
	s_cbranch_scc1 .LBB0_14
.LBB0_7:                                ; =>This Loop Header: Depth=1
                                        ;     Child Loop BB0_10 Depth 2
                                        ;       Child Loop BB0_12 Depth 3
	s_lshl_b64 s[0:1], s[18:19], 3
	s_add_u32 s0, s33, s0
	s_addc_u32 s1, s50, s1
	s_load_dwordx2 s[34:35], s[0:1], 0x0
	s_waitcnt lgkmcnt(0)
	v_cmp_gt_i64_e32 vcc, s[34:35], v[0:1]
	s_and_saveexec_b64 s[36:37], vcc
	s_cbranch_execz .LBB0_6
; %bb.8:                                ;   in Loop: Header=BB0_7 Depth=1
	s_lshl_b64 s[0:1], s[30:31], 3
	s_add_u32 s57, s16, s0
	s_addc_u32 s0, s17, s1
	s_mov_b64 s[38:39], 0
	v_mov_b32_e32 v186, s0
	v_pk_mov_b32 v[172:173], v[0:1], v[0:1] op_sel:[0,1]
	s_branch .LBB0_10
.LBB0_9:                                ;   in Loop: Header=BB0_10 Depth=2
	v_lshlrev_b64 v[146:147], 3, v[176:177]
	v_mov_b32_e32 v148, s45
	v_add_co_u32_e32 v146, vcc, s44, v146
	v_addc_co_u32_e32 v147, vcc, v148, v147, vcc
	global_load_dwordx2 v[146:147], v[146:147], off
	v_mov_b32_e32 v148, s47
	v_add_co_u32_e32 v150, vcc, s46, v178
	v_addc_co_u32_e32 v151, vcc, v148, v179, vcc
	global_load_dwordx4 v[152:155], v[150:151], off
	global_load_dwordx4 v[156:159], v[150:151], off offset:16
	global_load_dwordx4 v[160:163], v[150:151], off offset:32
	s_waitcnt vmcnt(2)
	v_fmac_f64_e32 v[46:47], v[146:147], v[152:153]
	v_fmac_f64_e32 v[48:49], v[146:147], v[154:155]
	global_load_dwordx4 v[152:155], v[150:151], off offset:48
	s_waitcnt vmcnt(2)
	v_fmac_f64_e32 v[142:143], v[146:147], v[156:157]
	v_fmac_f64_e32 v[144:145], v[146:147], v[158:159]
	global_load_dwordx4 v[156:159], v[150:151], off offset:64
	s_waitcnt vmcnt(2)
	v_fmac_f64_e32 v[138:139], v[146:147], v[160:161]
	v_fmac_f64_e32 v[140:141], v[146:147], v[162:163]
	global_load_dwordx4 v[160:163], v[150:151], off offset:80
	v_div_scale_f64 v[148:149], s[0:1], v[46:47], v[46:47], v[48:49]
	s_waitcnt vmcnt(2)
	v_fmac_f64_e32 v[134:135], v[146:147], v[152:153]
	v_fmac_f64_e32 v[136:137], v[146:147], v[154:155]
	global_load_dwordx4 v[152:155], v[150:151], off offset:96
	s_waitcnt vmcnt(2)
	v_fmac_f64_e32 v[50:51], v[146:147], v[156:157]
	v_fmac_f64_e32 v[52:53], v[146:147], v[158:159]
	global_load_dwordx4 v[156:159], v[150:151], off offset:112
	;; [unrolled: 4-line block ×25, first 2 shown]
	s_waitcnt vmcnt(2)
	v_fmac_f64_e32 v[2:3], v[146:147], v[156:157]
	v_rcp_f64_e32 v[156:157], v[148:149]
	v_fmac_f64_e32 v[4:5], v[146:147], v[158:159]
	v_div_scale_f64 v[158:159], s[0:1], v[46:47], v[46:47], v[142:143]
	s_waitcnt vmcnt(1)
	v_fmac_f64_e32 v[90:91], v[146:147], v[160:161]
	v_rcp_f64_e32 v[160:161], v[158:159]
	v_fmac_f64_e32 v[92:93], v[146:147], v[162:163]
	s_waitcnt vmcnt(0)
	v_fmac_f64_e32 v[42:43], v[146:147], v[152:153]
	v_fma_f64 v[152:153], -v[148:149], v[156:157], 1.0
	v_fmac_f64_e32 v[156:157], v[156:157], v[152:153]
	v_fma_f64 v[152:153], -v[148:149], v[156:157], 1.0
	v_fmac_f64_e32 v[156:157], v[156:157], v[152:153]
	v_div_scale_f64 v[152:153], vcc, v[48:49], v[46:47], v[48:49]
	v_fmac_f64_e32 v[44:45], v[146:147], v[154:155]
	v_mul_f64 v[154:155], v[152:153], v[156:157]
	v_fma_f64 v[148:149], -v[148:149], v[154:155], v[152:153]
	s_nop 0
	v_div_fmas_f64 v[152:153], v[148:149], v[156:157], v[154:155]
	v_fma_f64 v[148:149], -v[158:159], v[160:161], 1.0
	v_fmac_f64_e32 v[160:161], v[160:161], v[148:149]
	v_fma_f64 v[148:149], -v[158:159], v[160:161], 1.0
	v_fmac_f64_e32 v[160:161], v[160:161], v[148:149]
	v_div_scale_f64 v[148:149], vcc, v[142:143], v[46:47], v[142:143]
	v_mul_f64 v[154:155], v[148:149], v[160:161]
	v_div_scale_f64 v[156:157], s[0:1], v[46:47], v[46:47], v[144:145]
	v_fma_f64 v[148:149], -v[158:159], v[154:155], v[148:149]
	v_rcp_f64_e32 v[158:159], v[156:157]
	v_div_fmas_f64 v[148:149], v[148:149], v[160:161], v[154:155]
	v_div_fixup_f64 v[148:149], v[148:149], v[46:47], v[142:143]
	v_fma_f64 v[154:155], -v[156:157], v[158:159], 1.0
	v_fmac_f64_e32 v[158:159], v[158:159], v[154:155]
	v_fma_f64 v[154:155], -v[156:157], v[158:159], 1.0
	v_fmac_f64_e32 v[158:159], v[158:159], v[154:155]
	v_div_scale_f64 v[154:155], vcc, v[144:145], v[46:47], v[144:145]
	v_mul_f64 v[160:161], v[154:155], v[158:159]
	v_fma_f64 v[154:155], -v[156:157], v[160:161], v[154:155]
	v_div_scale_f64 v[156:157], s[0:1], v[46:47], v[46:47], v[138:139]
	s_nop 0
	v_div_fmas_f64 v[154:155], v[154:155], v[158:159], v[160:161]
	v_rcp_f64_e32 v[158:159], v[156:157]
	v_div_fixup_f64 v[142:143], v[154:155], v[46:47], v[144:145]
	v_fma_f64 v[144:145], -v[156:157], v[158:159], 1.0
	v_fmac_f64_e32 v[158:159], v[158:159], v[144:145]
	v_fma_f64 v[144:145], -v[156:157], v[158:159], 1.0
	v_fmac_f64_e32 v[158:159], v[158:159], v[144:145]
	v_div_scale_f64 v[144:145], vcc, v[138:139], v[46:47], v[138:139]
	v_mul_f64 v[154:155], v[144:145], v[158:159]
	v_fma_f64 v[144:145], -v[156:157], v[154:155], v[144:145]
	v_div_scale_f64 v[156:157], s[0:1], v[46:47], v[46:47], v[140:141]
	v_rcp_f64_e32 v[160:161], v[156:157]
	v_div_fmas_f64 v[154:155], v[144:145], v[158:159], v[154:155]
	v_div_fixup_f64 v[138:139], v[154:155], v[46:47], v[138:139]
	v_div_scale_f64 v[154:155], s[0:1], v[46:47], v[46:47], v[136:137]
	v_fma_f64 v[144:145], -v[156:157], v[160:161], 1.0
	v_fmac_f64_e32 v[160:161], v[160:161], v[144:145]
	v_fma_f64 v[144:145], -v[156:157], v[160:161], 1.0
	v_fmac_f64_e32 v[160:161], v[160:161], v[144:145]
	v_div_scale_f64 v[144:145], vcc, v[140:141], v[46:47], v[140:141]
	v_mul_f64 v[158:159], v[144:145], v[160:161]
	v_fma_f64 v[144:145], -v[156:157], v[158:159], v[144:145]
	s_nop 1
	v_div_fmas_f64 v[156:157], v[144:145], v[160:161], v[158:159]
	v_div_scale_f64 v[158:159], s[0:1], v[46:47], v[46:47], v[134:135]
	v_rcp_f64_e32 v[160:161], v[158:159]
	v_div_fixup_f64 v[144:145], v[152:153], v[46:47], v[48:49]
	v_div_fixup_f64 v[48:49], v[156:157], v[46:47], v[140:141]
	v_rcp_f64_e32 v[156:157], v[154:155]
	v_fma_f64 v[140:141], -v[158:159], v[160:161], 1.0
	v_fmac_f64_e32 v[160:161], v[160:161], v[140:141]
	v_fma_f64 v[140:141], -v[158:159], v[160:161], 1.0
	v_fmac_f64_e32 v[160:161], v[160:161], v[140:141]
	v_div_scale_f64 v[140:141], vcc, v[134:135], v[46:47], v[134:135]
	v_mul_f64 v[152:153], v[140:141], v[160:161]
	v_fma_f64 v[140:141], -v[158:159], v[152:153], v[140:141]
	s_nop 1
	v_div_fmas_f64 v[140:141], v[140:141], v[160:161], v[152:153]
	v_div_fixup_f64 v[134:135], v[140:141], v[46:47], v[134:135]
	v_fma_f64 v[140:141], -v[154:155], v[156:157], 1.0
	v_fmac_f64_e32 v[156:157], v[156:157], v[140:141]
	v_fma_f64 v[140:141], -v[154:155], v[156:157], 1.0
	v_fmac_f64_e32 v[156:157], v[156:157], v[140:141]
	v_div_scale_f64 v[140:141], vcc, v[136:137], v[46:47], v[136:137]
	v_mul_f64 v[152:153], v[140:141], v[156:157]
	v_fma_f64 v[140:141], -v[154:155], v[152:153], v[140:141]
	s_nop 1
	v_div_fmas_f64 v[140:141], v[140:141], v[156:157], v[152:153]
	v_div_fixup_f64 v[136:137], v[140:141], v[46:47], v[136:137]
	v_fma_f64 v[140:141], v[144:145], v[50:51], 0
	v_add_f64 v[140:141], v[52:53], -v[140:141]
	v_fma_f64 v[52:53], v[148:149], v[50:51], 0
	v_add_f64 v[52:53], v[130:131], -v[52:53]
	v_div_scale_f64 v[130:131], s[0:1], v[140:141], v[140:141], v[52:53]
	v_rcp_f64_e32 v[152:153], v[130:131]
	v_fma_f64 v[154:155], -v[130:131], v[152:153], 1.0
	v_fmac_f64_e32 v[152:153], v[152:153], v[154:155]
	v_fma_f64 v[154:155], -v[130:131], v[152:153], 1.0
	v_fmac_f64_e32 v[152:153], v[152:153], v[154:155]
	v_div_scale_f64 v[154:155], vcc, v[52:53], v[140:141], v[52:53]
	v_mul_f64 v[156:157], v[154:155], v[152:153]
	v_fma_f64 v[130:131], -v[130:131], v[156:157], v[154:155]
	s_nop 1
	v_div_fmas_f64 v[130:131], v[130:131], v[152:153], v[156:157]
	v_fma_f64 v[152:153], v[142:143], v[50:51], 0
	v_add_f64 v[132:133], v[132:133], -v[152:153]
	v_div_scale_f64 v[152:153], s[0:1], v[140:141], v[140:141], v[132:133]
	v_rcp_f64_e32 v[154:155], v[152:153]
	v_fma_f64 v[156:157], -v[152:153], v[154:155], 1.0
	v_fmac_f64_e32 v[154:155], v[154:155], v[156:157]
	v_fma_f64 v[156:157], -v[152:153], v[154:155], 1.0
	v_fmac_f64_e32 v[154:155], v[154:155], v[156:157]
	v_div_scale_f64 v[156:157], vcc, v[132:133], v[140:141], v[132:133]
	v_mul_f64 v[158:159], v[156:157], v[154:155]
	v_fma_f64 v[152:153], -v[152:153], v[158:159], v[156:157]
	s_nop 1
	v_div_fmas_f64 v[152:153], v[152:153], v[154:155], v[158:159]
	;; [unrolled: 13-line block ×6, first 2 shown]
	v_fma_f64 v[124:125], v[144:145], v[38:39], 0
	v_div_fixup_f64 v[122:123], v[130:131], v[140:141], v[52:53]
	v_add_f64 v[40:41], v[40:41], -v[124:125]
	v_fma_f64 v[124:125], v[148:149], v[38:39], 0
	v_fmac_f64_e32 v[124:125], v[122:123], v[40:41]
	v_div_fixup_f64 v[52:53], v[152:153], v[140:141], v[132:133]
	v_add_f64 v[124:125], v[118:119], -v[124:125]
	v_fma_f64 v[118:119], v[142:143], v[38:39], 0
	v_fmac_f64_e32 v[118:119], v[52:53], v[40:41]
	v_add_f64 v[120:121], v[120:121], -v[118:119]
	v_div_scale_f64 v[118:119], s[0:1], v[124:125], v[124:125], v[120:121]
	v_rcp_f64_e32 v[130:131], v[118:119]
	v_fma_f64 v[132:133], -v[118:119], v[130:131], 1.0
	v_fmac_f64_e32 v[130:131], v[130:131], v[132:133]
	v_fma_f64 v[132:133], -v[118:119], v[130:131], 1.0
	v_fmac_f64_e32 v[130:131], v[130:131], v[132:133]
	v_div_scale_f64 v[132:133], vcc, v[120:121], v[124:125], v[120:121]
	v_mul_f64 v[152:153], v[132:133], v[130:131]
	v_fma_f64 v[118:119], -v[118:119], v[152:153], v[132:133]
	s_nop 1
	v_div_fmas_f64 v[130:131], v[118:119], v[130:131], v[152:153]
	v_div_fixup_f64 v[118:119], v[154:155], v[140:141], v[126:127]
	v_fma_f64 v[126:127], v[138:139], v[38:39], 0
	v_fmac_f64_e32 v[126:127], v[118:119], v[40:41]
	v_add_f64 v[132:133], v[114:115], -v[126:127]
	v_div_scale_f64 v[114:115], s[0:1], v[124:125], v[124:125], v[132:133]
	v_rcp_f64_e32 v[126:127], v[114:115]
	v_fma_f64 v[152:153], -v[114:115], v[126:127], 1.0
	v_fmac_f64_e32 v[126:127], v[126:127], v[152:153]
	v_fma_f64 v[152:153], -v[114:115], v[126:127], 1.0
	v_fmac_f64_e32 v[126:127], v[126:127], v[152:153]
	v_div_scale_f64 v[152:153], vcc, v[132:133], v[124:125], v[132:133]
	v_mul_f64 v[154:155], v[152:153], v[126:127]
	v_fma_f64 v[114:115], -v[114:115], v[154:155], v[152:153]
	s_nop 1
	v_div_fmas_f64 v[152:153], v[114:115], v[126:127], v[154:155]
	v_div_fixup_f64 v[114:115], v[156:157], v[140:141], v[128:129]
	;; [unrolled: 15-line block ×5, first 2 shown]
	v_fma_f64 v[120:121], v[144:145], v[26:27], 0
	v_add_f64 v[128:129], v[28:29], -v[120:121]
	v_fma_f64 v[28:29], v[148:149], v[26:27], 0
	v_fmac_f64_e32 v[28:29], v[122:123], v[128:129]
	v_add_f64 v[130:131], v[106:107], -v[28:29]
	v_fma_f64 v[28:29], v[142:143], v[26:27], 0
	v_fmac_f64_e32 v[28:29], v[52:53], v[128:129]
	v_fmac_f64_e32 v[28:29], v[112:113], v[130:131]
	v_add_f64 v[120:121], v[108:109], -v[28:29]
	v_fma_f64 v[28:29], v[144:145], v[22:23], 0
	v_add_f64 v[106:107], v[24:25], -v[28:29]
	v_fma_f64 v[24:25], v[148:149], v[22:23], 0
	v_fmac_f64_e32 v[24:25], v[122:123], v[106:107]
	v_add_f64 v[108:109], v[102:103], -v[24:25]
	v_fma_f64 v[24:25], v[142:143], v[22:23], 0
	v_fmac_f64_e32 v[24:25], v[52:53], v[106:107]
	v_fmac_f64_e32 v[24:25], v[112:113], v[108:109]
	v_add_f64 v[126:127], v[104:105], -v[24:25]
	;; [unrolled: 9-line block ×4, first 2 shown]
	v_fma_f64 v[12:13], v[144:145], v[2:3], 0
	v_add_f64 v[28:29], v[4:5], -v[12:13]
	v_fma_f64 v[4:5], v[148:149], v[2:3], 0
	v_fmac_f64_e32 v[4:5], v[122:123], v[28:29]
	v_add_f64 v[90:91], v[90:91], -v[4:5]
	v_fma_f64 v[4:5], v[142:143], v[2:3], 0
	v_fmac_f64_e32 v[4:5], v[52:53], v[28:29]
	v_fmac_f64_e32 v[4:5], v[112:113], v[90:91]
	v_fma_f64 v[12:13], v[138:139], v[26:27], 0
	v_add_f64 v[92:93], v[92:93], -v[4:5]
	v_div_fixup_f64 v[4:5], v[152:153], v[124:125], v[132:133]
	v_fmac_f64_e32 v[12:13], v[118:119], v[128:129]
	v_fmac_f64_e32 v[12:13], v[4:5], v[130:131]
	v_add_f64 v[86:87], v[86:87], -v[12:13]
	v_div_scale_f64 v[12:13], s[0:1], v[120:121], v[120:121], v[86:87]
	v_rcp_f64_e32 v[16:17], v[12:13]
	v_fma_f64 v[24:25], -v[12:13], v[16:17], 1.0
	v_fmac_f64_e32 v[16:17], v[16:17], v[24:25]
	v_fma_f64 v[24:25], -v[12:13], v[16:17], 1.0
	v_fmac_f64_e32 v[16:17], v[16:17], v[24:25]
	v_div_scale_f64 v[24:25], vcc, v[86:87], v[120:121], v[86:87]
	v_mul_f64 v[132:133], v[24:25], v[16:17]
	v_fma_f64 v[12:13], -v[12:13], v[132:133], v[24:25]
	s_nop 1
	v_div_fmas_f64 v[132:133], v[12:13], v[16:17], v[132:133]
	v_fma_f64 v[16:17], v[48:49], v[26:27], 0
	v_div_fixup_f64 v[12:13], v[156:157], v[124:125], v[154:155]
	v_fmac_f64_e32 v[16:17], v[114:115], v[128:129]
	v_fmac_f64_e32 v[16:17], v[12:13], v[130:131]
	v_add_f64 v[88:89], v[88:89], -v[16:17]
	v_div_scale_f64 v[16:17], s[0:1], v[120:121], v[120:121], v[88:89]
	v_rcp_f64_e32 v[24:25], v[16:17]
	v_fma_f64 v[152:153], -v[16:17], v[24:25], 1.0
	v_fmac_f64_e32 v[24:25], v[24:25], v[152:153]
	v_fma_f64 v[152:153], -v[16:17], v[24:25], 1.0
	v_fmac_f64_e32 v[24:25], v[24:25], v[152:153]
	v_div_scale_f64 v[152:153], vcc, v[88:89], v[120:121], v[88:89]
	v_mul_f64 v[154:155], v[152:153], v[24:25]
	v_fma_f64 v[16:17], -v[16:17], v[154:155], v[152:153]
	s_nop 1
	v_div_fmas_f64 v[152:153], v[16:17], v[24:25], v[154:155]
	v_fma_f64 v[24:25], v[134:135], v[26:27], 0
	;; [unrolled: 16-line block ×3, first 2 shown]
	v_div_fixup_f64 v[24:25], v[164:165], v[124:125], v[162:163]
	v_fmac_f64_e32 v[82:83], v[110:111], v[128:129]
	v_fmac_f64_e32 v[82:83], v[24:25], v[130:131]
	v_add_f64 v[158:159], v[84:85], -v[82:83]
	v_div_scale_f64 v[82:83], s[0:1], v[120:121], v[120:121], v[158:159]
	v_rcp_f64_e32 v[84:85], v[82:83]
	v_fma_f64 v[160:161], -v[82:83], v[84:85], 1.0
	v_fmac_f64_e32 v[84:85], v[84:85], v[160:161]
	v_fma_f64 v[160:161], -v[82:83], v[84:85], 1.0
	v_fmac_f64_e32 v[84:85], v[84:85], v[160:161]
	v_div_scale_f64 v[160:161], vcc, v[158:159], v[120:121], v[158:159]
	v_mul_f64 v[162:163], v[160:161], v[84:85]
	v_fma_f64 v[82:83], -v[82:83], v[162:163], v[160:161]
	s_nop 1
	v_div_fmas_f64 v[160:161], v[82:83], v[84:85], v[162:163]
	v_div_fixup_f64 v[84:85], v[132:133], v[120:121], v[86:87]
	v_fma_f64 v[86:87], v[138:139], v[22:23], 0
	v_fmac_f64_e32 v[86:87], v[118:119], v[106:107]
	v_fmac_f64_e32 v[86:87], v[4:5], v[108:109]
	;; [unrolled: 1-line block ×3, first 2 shown]
	v_add_f64 v[86:87], v[78:79], -v[86:87]
	v_fma_f64 v[78:79], v[48:49], v[22:23], 0
	v_fmac_f64_e32 v[78:79], v[114:115], v[106:107]
	v_div_fixup_f64 v[82:83], v[152:153], v[120:121], v[88:89]
	v_fmac_f64_e32 v[78:79], v[12:13], v[108:109]
	v_fmac_f64_e32 v[78:79], v[82:83], v[126:127]
	v_add_f64 v[80:81], v[80:81], -v[78:79]
	v_div_scale_f64 v[78:79], s[0:1], v[86:87], v[86:87], v[80:81]
	v_rcp_f64_e32 v[88:89], v[78:79]
	v_fma_f64 v[132:133], -v[78:79], v[88:89], 1.0
	v_fmac_f64_e32 v[88:89], v[88:89], v[132:133]
	v_fma_f64 v[132:133], -v[78:79], v[88:89], 1.0
	v_fmac_f64_e32 v[88:89], v[88:89], v[132:133]
	v_div_scale_f64 v[132:133], vcc, v[80:81], v[86:87], v[80:81]
	v_mul_f64 v[152:153], v[132:133], v[88:89]
	v_fma_f64 v[78:79], -v[78:79], v[152:153], v[132:133]
	v_fma_f64 v[132:133], v[134:135], v[22:23], 0
	v_fmac_f64_e32 v[132:133], v[116:117], v[106:107]
	v_div_fmas_f64 v[88:89], v[78:79], v[88:89], v[152:153]
	v_div_fixup_f64 v[78:79], v[156:157], v[120:121], v[154:155]
	v_fmac_f64_e32 v[132:133], v[16:17], v[108:109]
	v_fmac_f64_e32 v[132:133], v[78:79], v[126:127]
	v_add_f64 v[132:133], v[74:75], -v[132:133]
	v_div_scale_f64 v[74:75], s[0:1], v[86:87], v[86:87], v[132:133]
	v_rcp_f64_e32 v[152:153], v[74:75]
	v_fma_f64 v[154:155], -v[74:75], v[152:153], 1.0
	v_fmac_f64_e32 v[152:153], v[152:153], v[154:155]
	v_fma_f64 v[154:155], -v[74:75], v[152:153], 1.0
	v_fmac_f64_e32 v[152:153], v[152:153], v[154:155]
	v_div_scale_f64 v[154:155], vcc, v[132:133], v[86:87], v[132:133]
	v_mul_f64 v[156:157], v[154:155], v[152:153]
	v_fma_f64 v[74:75], -v[74:75], v[156:157], v[154:155]
	v_fma_f64 v[154:155], v[136:137], v[22:23], 0
	v_fmac_f64_e32 v[154:155], v[110:111], v[106:107]
	v_div_fmas_f64 v[152:153], v[74:75], v[152:153], v[156:157]
	v_div_fixup_f64 v[74:75], v[160:161], v[120:121], v[158:159]
	v_fmac_f64_e32 v[154:155], v[24:25], v[108:109]
	v_fmac_f64_e32 v[154:155], v[74:75], v[126:127]
	v_add_f64 v[154:155], v[76:77], -v[154:155]
	v_div_scale_f64 v[76:77], s[0:1], v[86:87], v[86:87], v[154:155]
	v_rcp_f64_e32 v[156:157], v[76:77]
	v_fma_f64 v[158:159], -v[76:77], v[156:157], 1.0
	v_fmac_f64_e32 v[156:157], v[156:157], v[158:159]
	v_fma_f64 v[158:159], -v[76:77], v[156:157], 1.0
	v_fmac_f64_e32 v[156:157], v[156:157], v[158:159]
	v_div_scale_f64 v[158:159], vcc, v[154:155], v[86:87], v[154:155]
	v_mul_f64 v[160:161], v[158:159], v[156:157]
	v_fma_f64 v[76:77], -v[76:77], v[160:161], v[158:159]
	s_nop 1
	v_div_fmas_f64 v[156:157], v[76:77], v[156:157], v[160:161]
	v_div_fixup_f64 v[76:77], v[88:89], v[86:87], v[80:81]
	v_fma_f64 v[80:81], v[138:139], v[14:15], 0
	v_fmac_f64_e32 v[80:81], v[118:119], v[102:103]
	v_fmac_f64_e32 v[80:81], v[4:5], v[104:105]
	;; [unrolled: 1-line block ×3, first 2 shown]
	v_add_f64 v[88:89], v[66:67], -v[80:81]
	v_fma_f64 v[66:67], v[48:49], v[14:15], 0
	v_fmac_f64_e32 v[66:67], v[114:115], v[102:103]
	v_fmac_f64_e32 v[66:67], v[12:13], v[104:105]
	;; [unrolled: 1-line block ×4, first 2 shown]
	v_add_f64 v[68:69], v[68:69], -v[66:67]
	v_fma_f64 v[66:67], v[138:139], v[10:11], 0
	v_fmac_f64_e32 v[66:67], v[118:119], v[98:99]
	v_fmac_f64_e32 v[66:67], v[4:5], v[94:95]
	;; [unrolled: 1-line block ×3, first 2 shown]
	v_add_f64 v[66:67], v[62:63], -v[66:67]
	v_fma_f64 v[62:63], v[48:49], v[10:11], 0
	v_fmac_f64_e32 v[62:63], v[114:115], v[98:99]
	v_fmac_f64_e32 v[62:63], v[12:13], v[94:95]
	;; [unrolled: 1-line block ×4, first 2 shown]
	v_add_f64 v[80:81], v[64:65], -v[62:63]
	v_fma_f64 v[64:65], v[134:135], v[14:15], 0
	v_fmac_f64_e32 v[64:65], v[116:117], v[102:103]
	v_fmac_f64_e32 v[64:65], v[16:17], v[104:105]
	v_div_fixup_f64 v[62:63], v[152:153], v[86:87], v[132:133]
	v_fmac_f64_e32 v[64:65], v[78:79], v[100:101]
	v_fmac_f64_e32 v[64:65], v[62:63], v[88:89]
	v_add_f64 v[64:65], v[58:59], -v[64:65]
	v_div_scale_f64 v[58:59], s[0:1], v[68:69], v[68:69], v[64:65]
	v_rcp_f64_e32 v[132:133], v[58:59]
	v_fma_f64 v[152:153], -v[58:59], v[132:133], 1.0
	v_fmac_f64_e32 v[132:133], v[132:133], v[152:153]
	v_fma_f64 v[152:153], -v[58:59], v[132:133], 1.0
	v_fmac_f64_e32 v[132:133], v[132:133], v[152:153]
	v_div_scale_f64 v[152:153], vcc, v[64:65], v[68:69], v[64:65]
	v_mul_f64 v[158:159], v[152:153], v[132:133]
	v_fma_f64 v[58:59], -v[58:59], v[158:159], v[152:153]
	v_fma_f64 v[152:153], v[136:137], v[14:15], 0
	v_fmac_f64_e32 v[152:153], v[110:111], v[102:103]
	v_fmac_f64_e32 v[152:153], v[24:25], v[104:105]
	v_div_fmas_f64 v[132:133], v[58:59], v[132:133], v[158:159]
	v_div_fixup_f64 v[58:59], v[156:157], v[86:87], v[154:155]
	v_fmac_f64_e32 v[152:153], v[74:75], v[100:101]
	v_fmac_f64_e32 v[152:153], v[58:59], v[88:89]
	v_add_f64 v[60:61], v[60:61], -v[152:153]
	v_div_scale_f64 v[152:153], s[0:1], v[68:69], v[68:69], v[60:61]
	v_rcp_f64_e32 v[154:155], v[152:153]
	v_div_fixup_f64 v[64:65], v[132:133], v[68:69], v[64:65]
	v_fma_f64 v[132:133], v[134:135], v[10:11], 0
	v_fmac_f64_e32 v[132:133], v[116:117], v[98:99]
	v_fmac_f64_e32 v[132:133], v[16:17], v[94:95]
	v_fma_f64 v[156:157], -v[152:153], v[154:155], 1.0
	v_fmac_f64_e32 v[132:133], v[78:79], v[96:97]
	v_fmac_f64_e32 v[154:155], v[154:155], v[156:157]
	;; [unrolled: 1-line block ×3, first 2 shown]
	v_fma_f64 v[156:157], -v[152:153], v[154:155], 1.0
	v_fmac_f64_e32 v[132:133], v[64:65], v[80:81]
	v_fmac_f64_e32 v[154:155], v[154:155], v[156:157]
	v_div_scale_f64 v[156:157], vcc, v[60:61], v[68:69], v[60:61]
	v_add_f64 v[54:55], v[54:55], -v[132:133]
	v_fma_f64 v[132:133], v[136:137], v[10:11], 0
	v_mul_f64 v[158:159], v[156:157], v[154:155]
	v_fmac_f64_e32 v[132:133], v[110:111], v[98:99]
	v_fma_f64 v[152:153], -v[152:153], v[158:159], v[156:157]
	v_fmac_f64_e32 v[132:133], v[24:25], v[94:95]
	v_div_fmas_f64 v[152:153], v[152:153], v[154:155], v[158:159]
	v_fmac_f64_e32 v[132:133], v[74:75], v[96:97]
	v_div_fixup_f64 v[60:61], v[152:153], v[68:69], v[60:61]
	v_fmac_f64_e32 v[132:133], v[58:59], v[66:67]
	v_fmac_f64_e32 v[132:133], v[60:61], v[80:81]
	v_add_f64 v[56:57], v[56:57], -v[132:133]
	v_div_scale_f64 v[132:133], s[0:1], v[54:55], v[54:55], v[56:57]
	v_rcp_f64_e32 v[152:153], v[132:133]
	v_fma_f64 v[154:155], -v[132:133], v[152:153], 1.0
	v_fmac_f64_e32 v[152:153], v[152:153], v[154:155]
	v_fma_f64 v[154:155], -v[132:133], v[152:153], 1.0
	v_fmac_f64_e32 v[152:153], v[152:153], v[154:155]
	v_div_scale_f64 v[154:155], vcc, v[56:57], v[54:55], v[56:57]
	v_mul_f64 v[156:157], v[154:155], v[152:153]
	v_fma_f64 v[132:133], -v[132:133], v[156:157], v[154:155]
	s_nop 1
	v_div_fmas_f64 v[132:133], v[132:133], v[152:153], v[156:157]
	v_div_scale_f64 v[152:153], s[0:1], v[46:47], v[46:47], v[70:71]
	v_rcp_f64_e32 v[154:155], v[152:153]
	v_fma_f64 v[156:157], -v[152:153], v[154:155], 1.0
	v_fmac_f64_e32 v[154:155], v[154:155], v[156:157]
	v_fma_f64 v[156:157], -v[152:153], v[154:155], 1.0
	v_fmac_f64_e32 v[154:155], v[154:155], v[156:157]
	v_div_scale_f64 v[156:157], vcc, v[70:71], v[46:47], v[70:71]
	v_mul_f64 v[158:159], v[156:157], v[154:155]
	v_fma_f64 v[152:153], -v[152:153], v[158:159], v[156:157]
	s_nop 1
	v_div_fmas_f64 v[152:153], v[152:153], v[154:155], v[158:159]
	v_div_fixup_f64 v[46:47], v[152:153], v[46:47], v[70:71]
	v_fma_f64 v[50:51], v[46:47], v[50:51], 0
	v_add_f64 v[50:51], v[72:73], -v[50:51]
	v_div_scale_f64 v[70:71], s[0:1], v[140:141], v[140:141], v[50:51]
	v_rcp_f64_e32 v[72:73], v[70:71]
	v_fma_f64 v[38:39], v[46:47], v[38:39], 0
	v_fma_f64 v[26:27], v[46:47], v[26:27], 0
	;; [unrolled: 1-line block ×3, first 2 shown]
	v_fma_f64 v[152:153], -v[70:71], v[72:73], 1.0
	v_fmac_f64_e32 v[72:73], v[72:73], v[152:153]
	v_fma_f64 v[152:153], -v[70:71], v[72:73], 1.0
	v_fmac_f64_e32 v[72:73], v[72:73], v[152:153]
	v_div_scale_f64 v[152:153], vcc, v[50:51], v[140:141], v[50:51]
	v_mul_f64 v[154:155], v[152:153], v[72:73]
	v_fma_f64 v[70:71], -v[70:71], v[154:155], v[152:153]
	v_fma_f64 v[14:15], v[46:47], v[14:15], 0
	s_nop 0
	v_div_fmas_f64 v[70:71], v[70:71], v[72:73], v[154:155]
	v_div_fixup_f64 v[50:51], v[70:71], v[140:141], v[50:51]
	v_fma_f64 v[70:71], v[138:139], v[2:3], 0
	v_fmac_f64_e32 v[70:71], v[118:119], v[28:29]
	v_fmac_f64_e32 v[70:71], v[4:5], v[90:91]
	;; [unrolled: 1-line block ×4, first 2 shown]
	v_add_f64 v[42:43], v[42:43], -v[70:71]
	v_add_f64 v[70:71], v[34:35], -v[38:39]
	v_div_scale_f64 v[38:39], s[0:1], v[124:125], v[124:125], v[70:71]
	v_rcp_f64_e32 v[72:73], v[38:39]
	v_fma_f64 v[140:141], v[48:49], v[2:3], 0
	v_fmac_f64_e32 v[140:141], v[114:115], v[28:29]
	v_fmac_f64_e32 v[140:141], v[12:13], v[90:91]
	v_fma_f64 v[40:41], -v[38:39], v[72:73], 1.0
	v_fmac_f64_e32 v[72:73], v[72:73], v[40:41]
	v_fmac_f64_e32 v[140:141], v[82:83], v[92:93]
	v_fma_f64 v[40:41], -v[38:39], v[72:73], 1.0
	v_fmac_f64_e32 v[140:141], v[76:77], v[42:43]
	v_fmac_f64_e32 v[72:73], v[72:73], v[40:41]
	v_div_scale_f64 v[40:41], vcc, v[70:71], v[124:125], v[70:71]
	v_add_f64 v[34:35], v[44:45], -v[140:141]
	v_mul_f64 v[44:45], v[40:41], v[72:73]
	v_fma_f64 v[140:141], -v[38:39], v[44:45], v[40:41]
	global_load_dwordx4 v[38:41], v[150:151], off offset:496
	v_fmac_f64_e32 v[26:27], v[50:51], v[128:129]
	v_fmac_f64_e32 v[22:23], v[50:51], v[106:107]
	;; [unrolled: 1-line block ×3, first 2 shown]
	v_fma_f64 v[10:11], v[46:47], v[10:11], 0
	v_fmac_f64_e32 v[10:11], v[50:51], v[98:99]
	s_waitcnt vmcnt(0)
	v_fmac_f64_e32 v[6:7], v[146:147], v[38:39]
	v_div_fmas_f64 v[38:39], v[140:141], v[72:73], v[44:45]
	v_div_fixup_f64 v[38:39], v[38:39], v[124:125], v[70:71]
	v_fmac_f64_e32 v[26:27], v[38:39], v[130:131]
	v_add_f64 v[26:27], v[36:37], -v[26:27]
	v_div_scale_f64 v[36:37], s[0:1], v[120:121], v[120:121], v[26:27]
	v_rcp_f64_e32 v[70:71], v[36:37]
	v_fmac_f64_e32 v[22:23], v[38:39], v[108:109]
	v_fmac_f64_e32 v[14:15], v[38:39], v[104:105]
	;; [unrolled: 1-line block ×3, first 2 shown]
	v_fma_f64 v[72:73], -v[36:37], v[70:71], 1.0
	v_fmac_f64_e32 v[70:71], v[70:71], v[72:73]
	v_fma_f64 v[72:73], -v[36:37], v[70:71], 1.0
	v_fmac_f64_e32 v[70:71], v[70:71], v[72:73]
	v_div_scale_f64 v[72:73], vcc, v[26:27], v[120:121], v[26:27]
	v_mul_f64 v[124:125], v[72:73], v[70:71]
	v_fma_f64 v[36:37], -v[36:37], v[124:125], v[72:73]
	v_fma_f64 v[44:45], v[134:135], v[2:3], 0
	s_nop 0
	v_div_fmas_f64 v[36:37], v[36:37], v[70:71], v[124:125]
	v_div_fixup_f64 v[26:27], v[36:37], v[120:121], v[26:27]
	v_fmac_f64_e32 v[22:23], v[26:27], v[126:127]
	v_add_f64 v[22:23], v[30:31], -v[22:23]
	v_div_scale_f64 v[30:31], s[0:1], v[86:87], v[86:87], v[22:23]
	v_rcp_f64_e32 v[36:37], v[30:31]
	v_fmac_f64_e32 v[14:15], v[26:27], v[100:101]
	v_fmac_f64_e32 v[10:11], v[26:27], v[96:97]
	;; [unrolled: 1-line block ×3, first 2 shown]
	v_fma_f64 v[70:71], -v[30:31], v[36:37], 1.0
	v_fmac_f64_e32 v[36:37], v[36:37], v[70:71]
	v_fma_f64 v[70:71], -v[30:31], v[36:37], 1.0
	v_fmac_f64_e32 v[36:37], v[36:37], v[70:71]
	v_div_scale_f64 v[70:71], vcc, v[22:23], v[86:87], v[22:23]
	v_mul_f64 v[72:73], v[70:71], v[36:37]
	v_fma_f64 v[30:31], -v[30:31], v[72:73], v[70:71]
	v_fmac_f64_e32 v[44:45], v[16:17], v[90:91]
	s_nop 0
	v_div_fmas_f64 v[30:31], v[30:31], v[36:37], v[72:73]
	v_div_fixup_f64 v[22:23], v[30:31], v[86:87], v[22:23]
	v_fmac_f64_e32 v[14:15], v[22:23], v[88:89]
	v_add_f64 v[14:15], v[32:33], -v[14:15]
	v_div_scale_f64 v[30:31], s[0:1], v[68:69], v[68:69], v[14:15]
	v_rcp_f64_e32 v[32:33], v[30:31]
	v_fmac_f64_e32 v[10:11], v[22:23], v[66:67]
	v_fmac_f64_e32 v[44:45], v[78:79], v[92:93]
	v_fmac_f64_e32 v[44:45], v[62:63], v[42:43]
	v_fma_f64 v[36:37], -v[30:31], v[32:33], 1.0
	v_fmac_f64_e32 v[32:33], v[32:33], v[36:37]
	v_fma_f64 v[36:37], -v[30:31], v[32:33], 1.0
	v_fmac_f64_e32 v[32:33], v[32:33], v[36:37]
	v_div_scale_f64 v[36:37], vcc, v[14:15], v[68:69], v[14:15]
	v_mul_f64 v[70:71], v[36:37], v[32:33]
	v_fma_f64 v[30:31], -v[30:31], v[70:71], v[36:37]
	v_fmac_f64_e32 v[44:45], v[64:65], v[34:35]
	s_nop 0
	v_div_fmas_f64 v[30:31], v[30:31], v[32:33], v[70:71]
	v_div_fixup_f64 v[14:15], v[30:31], v[68:69], v[14:15]
	v_fmac_f64_e32 v[10:11], v[14:15], v[80:81]
	v_add_f64 v[10:11], v[18:19], -v[10:11]
	v_div_scale_f64 v[18:19], s[0:1], v[54:55], v[54:55], v[10:11]
	v_rcp_f64_e32 v[30:31], v[18:19]
	v_add_f64 v[6:7], v[6:7], -v[44:45]
	v_div_fixup_f64 v[44:45], v[132:133], v[54:55], v[56:57]
	v_fma_f64 v[56:57], v[2:3], v[136:137], 0
	v_fma_f64 v[32:33], -v[18:19], v[30:31], 1.0
	v_fmac_f64_e32 v[30:31], v[30:31], v[32:33]
	v_fma_f64 v[32:33], -v[18:19], v[30:31], 1.0
	v_fma_f64 v[2:3], v[46:47], v[2:3], 0
	v_fmac_f64_e32 v[56:57], v[28:29], v[110:111]
	v_fmac_f64_e32 v[30:31], v[30:31], v[32:33]
	v_div_scale_f64 v[32:33], vcc, v[10:11], v[54:55], v[10:11]
	v_fmac_f64_e32 v[2:3], v[50:51], v[28:29]
	v_fmac_f64_e32 v[56:57], v[90:91], v[24:25]
	v_mul_f64 v[36:37], v[32:33], v[30:31]
	v_fmac_f64_e32 v[2:3], v[38:39], v[90:91]
	v_fmac_f64_e32 v[56:57], v[92:93], v[74:75]
	v_fma_f64 v[18:19], -v[18:19], v[36:37], v[32:33]
	v_fmac_f64_e32 v[2:3], v[26:27], v[92:93]
	v_fmac_f64_e32 v[56:57], v[42:43], v[58:59]
	v_div_fmas_f64 v[18:19], v[18:19], v[30:31], v[36:37]
	v_fmac_f64_e32 v[2:3], v[22:23], v[42:43]
	v_fmac_f64_e32 v[56:57], v[34:35], v[60:61]
	v_div_fixup_f64 v[10:11], v[18:19], v[54:55], v[10:11]
	v_fmac_f64_e32 v[2:3], v[14:15], v[34:35]
	v_fmac_f64_e32 v[56:57], v[6:7], v[44:45]
	;; [unrolled: 1-line block ×4, first 2 shown]
	v_add_f64 v[8:9], v[8:9], -v[56:57]
	v_add_f64 v[2:3], v[20:21], -v[2:3]
	v_div_scale_f64 v[6:7], s[0:1], v[8:9], v[8:9], v[2:3]
	v_rcp_f64_e32 v[18:19], v[6:7]
	v_mov_b32_e32 v66, s56
	v_add_co_u32_e32 v28, vcc, s55, v174
	v_fma_f64 v[20:21], -v[6:7], v[18:19], 1.0
	v_fmac_f64_e32 v[18:19], v[18:19], v[20:21]
	v_addc_co_u32_e32 v29, vcc, v66, v175, vcc
	v_fma_f64 v[20:21], -v[6:7], v[18:19], 1.0
	v_fmac_f64_e32 v[18:19], v[18:19], v[20:21]
	v_div_scale_f64 v[20:21], vcc, v[2:3], v[8:9], v[2:3]
	v_mul_f64 v[30:31], v[20:21], v[18:19]
	v_fma_f64 v[6:7], -v[6:7], v[30:31], v[20:21]
	s_nop 1
	v_div_fmas_f64 v[6:7], v[6:7], v[18:19], v[30:31]
	v_div_fixup_f64 v[8:9], v[6:7], v[8:9], v[2:3]
	v_fma_f64 v[2:3], v[44:45], v[8:9], 0
	v_add_f64 v[6:7], v[10:11], -v[2:3]
	v_fma_f64 v[2:3], v[64:65], v[6:7], 0
	v_fmac_f64_e32 v[2:3], v[60:61], v[8:9]
	v_add_f64 v[20:21], v[14:15], -v[2:3]
	v_fma_f64 v[2:3], v[76:77], v[20:21], 0
	v_fmac_f64_e32 v[2:3], v[62:63], v[6:7]
	v_fmac_f64_e32 v[2:3], v[58:59], v[8:9]
	v_add_f64 v[18:19], v[22:23], -v[2:3]
	v_fma_f64 v[2:3], v[84:85], v[18:19], 0
	v_fmac_f64_e32 v[2:3], v[82:83], v[20:21]
	v_fmac_f64_e32 v[2:3], v[78:79], v[6:7]
	;; [unrolled: 1-line block ×3, first 2 shown]
	v_add_f64 v[14:15], v[26:27], -v[2:3]
	v_fma_f64 v[2:3], v[112:113], v[14:15], 0
	v_fmac_f64_e32 v[2:3], v[4:5], v[18:19]
	v_fmac_f64_e32 v[2:3], v[12:13], v[20:21]
	;; [unrolled: 1-line block ×4, first 2 shown]
	v_add_f64 v[12:13], v[38:39], -v[2:3]
	v_fma_f64 v[2:3], v[122:123], v[12:13], 0
	v_fmac_f64_e32 v[2:3], v[52:53], v[14:15]
	v_fmac_f64_e32 v[2:3], v[118:119], v[18:19]
	;; [unrolled: 1-line block ×5, first 2 shown]
	v_add_f64 v[4:5], v[50:51], -v[2:3]
	v_fma_f64 v[2:3], v[144:145], v[4:5], 0
	v_fmac_f64_e32 v[2:3], v[148:149], v[12:13]
	v_fmac_f64_e32 v[2:3], v[142:143], v[14:15]
	;; [unrolled: 1-line block ×4, first 2 shown]
	v_add_co_u32_e32 v172, vcc, 64, v172
	v_fmac_f64_e32 v[2:3], v[134:135], v[6:7]
	v_addc_co_u32_e32 v173, vcc, 0, v173, vcc
	v_fmac_f64_e32 v[2:3], v[136:137], v[8:9]
	v_cmp_le_i64_e32 vcc, s[34:35], v[172:173]
	v_add_f64 v[2:3], v[46:47], -v[2:3]
	s_or_b64 s[38:39], vcc, s[38:39]
	global_store_dwordx4 v[28:29], v[6:9], off offset:48
	global_store_dwordx4 v[28:29], v[18:21], off offset:32
	global_store_dwordx4 v[28:29], v[12:15], off offset:16
	global_store_dwordx4 v[28:29], v[2:5], off
	s_andn2_b64 exec, exec, s[38:39]
	s_cbranch_execz .LBB0_6
.LBB0_10:                               ;   Parent Loop BB0_7 Depth=1
                                        ; =>  This Loop Header: Depth=2
                                        ;       Child Loop BB0_12 Depth 3
	v_lshlrev_b64 v[2:3], 3, v[172:173]
	v_add_co_u32_e32 v2, vcc, s57, v2
	v_addc_co_u32_e32 v3, vcc, v186, v3, vcc
	global_load_dwordx2 v[176:177], v[2:3], off
	s_mov_b64 s[40:41], 0
	s_waitcnt vmcnt(0)
	v_lshlrev_b64 v[174:175], 6, v[176:177]
	v_add_co_u32_e32 v2, vcc, s48, v174
	v_lshlrev_b64 v[178:179], 9, v[176:177]
	v_addc_co_u32_e32 v3, vcc, v184, v175, vcc
	v_add_co_u32_e32 v4, vcc, s49, v178
	v_addc_co_u32_e32 v5, vcc, v185, v179, vcc
	global_load_dwordx4 v[18:21], v[2:3], off offset:48
	global_load_dwordx4 v[30:33], v[2:3], off offset:32
	;; [unrolled: 1-line block ×3, first 2 shown]
	global_load_dwordx4 v[70:73], v[2:3], off
	global_load_dwordx4 v[134:137], v[4:5], off offset:48
	global_load_dwordx4 v[138:141], v[4:5], off offset:32
	;; [unrolled: 1-line block ×3, first 2 shown]
	global_load_dwordx4 v[46:49], v[4:5], off
	global_load_dwordx4 v[122:125], v[4:5], off offset:112
	global_load_dwordx4 v[126:129], v[4:5], off offset:96
	;; [unrolled: 1-line block ×7, first 2 shown]
                                        ; kill: killed $vgpr2 killed $vgpr3
	global_load_dwordx4 v[38:41], v[4:5], off offset:128
	global_load_dwordx4 v[82:85], v[4:5], off offset:240
	;; [unrolled: 1-line block ×20, first 2 shown]
	s_nop 0
	global_load_dwordx4 v[2:5], v[4:5], off offset:448
	v_mad_u64_u32 v[180:181], s[0:1], v176, 48, s[14:15]
	v_mul_lo_u32 v146, v177, 48
	v_mad_u64_u32 v[182:183], s[0:1], v176, 48, s[20:21]
	v_add_u32_e32 v181, v146, v181
	v_add_u32_e32 v183, v146, v183
	s_branch .LBB0_12
.LBB0_11:                               ;   in Loop: Header=BB0_12 Depth=3
	s_or_b64 exec, exec, s[42:43]
	s_add_u32 s40, s40, 8
	s_addc_u32 s41, s41, 0
	s_cmp_eq_u64 s[40:41], 48
	s_cbranch_scc1 .LBB0_9
.LBB0_12:                               ;   Parent Loop BB0_7 Depth=1
                                        ;     Parent Loop BB0_10 Depth=2
                                        ; =>    This Inner Loop Header: Depth=3
	v_mov_b32_e32 v149, s41
	v_add_co_u32_e32 v146, vcc, s40, v182
	v_addc_co_u32_e32 v147, vcc, v183, v149, vcc
	global_load_dwordx2 v[146:147], v[146:147], off
	v_add_co_u32_e32 v148, vcc, s40, v180
	v_addc_co_u32_e32 v149, vcc, v181, v149, vcc
	v_mov_b32_e32 v150, s23
	s_waitcnt vmcnt(0)
	v_lshlrev_b64 v[146:147], 3, v[146:147]
	v_add_co_u32_e32 v146, vcc, s22, v146
	v_addc_co_u32_e32 v147, vcc, v150, v147, vcc
	global_load_dwordx2 v[148:149], v[148:149], off
	s_nop 0
	global_load_dwordx2 v[146:147], v[146:147], off
	s_waitcnt vmcnt(1)
	v_cmp_ne_u64_e32 vcc, 0, v[148:149]
	s_waitcnt vmcnt(0)
	v_cmp_lt_i64_e64 s[0:1], -1, v[146:147]
	s_and_b64 s[0:1], s[0:1], vcc
	s_and_saveexec_b64 s[42:43], s[0:1]
	s_cbranch_execz .LBB0_11
; %bb.13:                               ;   in Loop: Header=BB0_12 Depth=3
	v_lshlrev_b64 v[148:149], 5, v[146:147]
	v_mov_b32_e32 v151, s25
	v_add_co_u32_e32 v150, vcc, s24, v148
	v_addc_co_u32_e32 v151, vcc, v151, v149, vcc
	global_load_dwordx2 v[150:151], v[150:151], off
	v_mov_b32_e32 v156, s26
	v_mov_b32_e32 v157, s24
	;; [unrolled: 1-line block ×9, first 2 shown]
	s_waitcnt vmcnt(0)
	v_ashrrev_i32_e32 v154, 31, v151
	v_lshrrev_b32_e32 v154, 29, v154
	v_add_co_u32_e32 v150, vcc, v150, v154
	v_addc_co_u32_e32 v151, vcc, 0, v151, vcc
	v_ashrrev_i64 v[150:151], 3, v[150:151]
	v_cmp_eq_u64_e32 vcc, v[176:177], v[150:151]
	v_cndmask_b32_e32 v150, v157, v156, vcc
	v_cndmask_b32_e32 v151, v153, v152, vcc
	v_add_co_u32_e64 v150, s[0:1], v150, v148
	v_addc_co_u32_e64 v151, s[0:1], v151, v149, s[0:1]
	global_load_dwordx4 v[188:191], v[150:151], off
	global_load_dwordx4 v[192:195], v[150:151], off offset:16
	v_lshlrev_b64 v[154:155], 8, v[146:147]
	v_cndmask_b32_e32 v146, v156, v157, vcc
	v_cndmask_b32_e32 v158, v152, v153, vcc
	v_cndmask_b32_e64 v147, 0, 1, vcc
	v_add_co_u32_e32 v150, vcc, v146, v148
	v_addc_co_u32_e32 v151, vcc, v158, v149, vcc
	v_lshlrev_b32_e32 v156, 7, v147
	global_load_dwordx4 v[146:149], v[150:151], off offset:16
	s_nop 0
	global_load_dwordx4 v[150:153], v[150:151], off
	v_add_co_u32_e32 v156, vcc, s51, v156
	v_addc_co_u32_e32 v157, vcc, 0, v159, vcc
	v_add_co_u32_e32 v208, vcc, v156, v154
	v_addc_co_u32_e32 v209, vcc, v157, v155, vcc
	global_load_dwordx4 v[166:169], v[208:209], off
	global_load_dwordx4 v[162:165], v[208:209], off offset:16
	global_load_dwordx4 v[158:161], v[208:209], off offset:32
	;; [unrolled: 1-line block ×6, first 2 shown]
	s_nop 0
	global_load_dwordx4 v[208:211], v[208:209], off offset:112
	s_waitcnt vmcnt(11)
	v_lshlrev_b64 v[188:189], 3, v[188:189]
	v_add_co_u32_e32 v188, vcc, s53, v188
	v_lshlrev_b64 v[190:191], 3, v[190:191]
	v_addc_co_u32_e32 v189, vcc, v187, v189, vcc
	v_add_co_u32_e32 v190, vcc, s53, v190
	s_waitcnt vmcnt(10)
	v_lshlrev_b64 v[192:193], 3, v[192:193]
	v_addc_co_u32_e32 v191, vcc, v212, v191, vcc
	v_add_co_u32_e32 v192, vcc, s53, v192
	v_lshlrev_b64 v[194:195], 3, v[194:195]
	global_load_dwordx2 v[188:189], v[188:189], off
	v_addc_co_u32_e32 v193, vcc, v213, v193, vcc
	global_load_dwordx2 v[190:191], v[190:191], off
	v_add_co_u32_e32 v194, vcc, s53, v194
	global_load_dwordx2 v[192:193], v[192:193], off
	v_addc_co_u32_e32 v195, vcc, v214, v195, vcc
	global_load_dwordx2 v[194:195], v[194:195], off
	s_waitcnt vmcnt(12)
	v_ashrrev_i32_e32 v151, 31, v151
	v_lshrrev_b32_e32 v151, 29, v151
	v_ashrrev_i32_e32 v147, 31, v147
	v_add_u32_e32 v151, v150, v151
	v_lshrrev_b32_e32 v147, 29, v147
	v_and_b32_e32 v151, -8, v151
	v_add_u32_e32 v147, v146, v147
	v_sub_u32_e32 v187, v150, v151
	v_and_b32_e32 v147, -8, v147
	v_cmp_eq_u32_e32 vcc, 1, v187
	v_sub_u32_e32 v213, v146, v147
	v_cndmask_b32_e32 v146, v71, v73, vcc
	v_cmp_eq_u32_e64 s[0:1], 2, v187
	v_ashrrev_i32_e32 v149, 31, v149
	v_cndmask_b32_e64 v146, v146, v35, s[0:1]
	v_cndmask_b32_e32 v147, v70, v72, vcc
	v_cmp_eq_u32_e64 s[2:3], 3, v187
	v_lshrrev_b32_e32 v149, 29, v149
	v_cndmask_b32_e64 v146, v146, v37, s[2:3]
	v_cndmask_b32_e64 v147, v147, v34, s[0:1]
	v_cmp_eq_u32_e64 s[4:5], 4, v187
	v_add_u32_e32 v149, v148, v149
	v_cndmask_b32_e64 v146, v146, v31, s[4:5]
	v_cndmask_b32_e64 v147, v147, v36, s[2:3]
	v_cmp_eq_u32_e64 s[6:7], 5, v187
	v_and_b32_e32 v149, -8, v149
	v_cndmask_b32_e64 v146, v146, v33, s[6:7]
	v_cndmask_b32_e64 v147, v147, v30, s[4:5]
	v_cmp_eq_u32_e64 s[8:9], 6, v187
	s_waitcnt vmcnt(11)
	v_mul_f64 v[166:167], v[170:171], v[166:167]
	v_sub_u32_e32 v214, v148, v149
	v_cndmask_b32_e64 v146, v146, v19, s[8:9]
	v_cndmask_b32_e64 v148, v147, v32, s[6:7]
	v_cmp_eq_u32_e64 s[10:11], 7, v187
	v_ashrrev_i32_e32 v153, 31, v153
	v_mul_f64 v[168:169], v[170:171], v[168:169]
	v_cndmask_b32_e64 v147, v146, v21, s[10:11]
	v_cndmask_b32_e64 v146, v148, v18, s[8:9]
	v_lshrrev_b32_e32 v153, 29, v153
	s_waitcnt vmcnt(10)
	v_mul_f64 v[162:163], v[170:171], v[162:163]
	v_mul_f64 v[164:165], v[170:171], v[164:165]
	v_add_u32_e32 v153, v152, v153
	v_and_b32_e32 v153, -8, v153
	v_cndmask_b32_e64 v146, v146, v20, s[10:11]
	v_sub_u32_e32 v212, v152, v153
	v_cmp_eq_u32_e64 s[12:13], 0, v187
	s_waitcnt vmcnt(9)
	v_mul_f64 v[158:159], v[170:171], v[158:159]
	v_mul_f64 v[160:161], v[170:171], v[160:161]
	s_waitcnt vmcnt(8)
	v_mul_f64 v[154:155], v[170:171], v[154:155]
	v_mul_f64 v[156:157], v[170:171], v[156:157]
	;; [unrolled: 3-line block ×6, first 2 shown]
	s_waitcnt vmcnt(3)
	v_fma_f64 v[148:149], v[166:167], v[188:189], 0
	v_fma_f64 v[150:151], v[158:159], v[188:189], 0
	;; [unrolled: 1-line block ×3, first 2 shown]
	s_waitcnt vmcnt(2)
	v_fmac_f64_e32 v[148:149], v[168:169], v[190:191]
	v_fmac_f64_e32 v[150:151], v[160:161], v[190:191]
	;; [unrolled: 1-line block ×3, first 2 shown]
	s_waitcnt vmcnt(1)
	v_fmac_f64_e32 v[148:149], v[162:163], v[192:193]
	v_fmac_f64_e32 v[150:151], v[154:155], v[192:193]
	;; [unrolled: 1-line block ×3, first 2 shown]
	s_waitcnt vmcnt(0)
	v_fmac_f64_e32 v[148:149], v[164:165], v[194:195]
	v_add_f64 v[146:147], v[146:147], -v[148:149]
	v_cndmask_b32_e32 v72, v72, v146, vcc
	v_cndmask_b32_e64 v70, v70, v146, s[12:13]
	v_cndmask_b32_e32 v73, v73, v147, vcc
	v_cndmask_b32_e64 v71, v71, v147, s[12:13]
	v_cmp_eq_u32_e32 vcc, 1, v212
	v_cndmask_b32_e64 v20, v20, v146, s[10:11]
	v_cndmask_b32_e64 v148, v18, v146, s[8:9]
	;; [unrolled: 1-line block ×8, first 2 shown]
	v_cndmask_b32_e32 v18, v71, v73, vcc
	v_cndmask_b32_e32 v19, v70, v72, vcc
	v_cmp_eq_u32_e64 s[0:1], 2, v212
	v_cndmask_b32_e64 v37, v37, v147, s[2:3]
	v_cndmask_b32_e64 v18, v18, v35, s[0:1]
	v_cndmask_b32_e64 v19, v19, v34, s[0:1]
	v_cmp_eq_u32_e64 s[2:3], 3, v212
	v_cndmask_b32_e64 v31, v31, v147, s[4:5]
	v_cndmask_b32_e64 v18, v18, v37, s[2:3]
	v_cndmask_b32_e64 v19, v19, v36, s[2:3]
	;; [unrolled: 4-line block ×3, first 2 shown]
	v_cmp_eq_u32_e64 s[6:7], 5, v212
	v_cndmask_b32_e64 v18, v18, v33, s[6:7]
	v_cndmask_b32_e64 v19, v19, v32, s[6:7]
	v_cmp_eq_u32_e64 s[8:9], 6, v212
	v_cndmask_b32_e64 v21, v21, v147, s[10:11]
	v_cndmask_b32_e64 v18, v18, v146, s[8:9]
	;; [unrolled: 1-line block ×3, first 2 shown]
	v_cmp_eq_u32_e64 s[10:11], 7, v212
	v_fmac_f64_e32 v[150:151], v[156:157], v[194:195]
	v_cndmask_b32_e64 v19, v18, v21, s[10:11]
	v_cndmask_b32_e64 v18, v147, v20, s[10:11]
	v_add_f64 v[18:19], v[18:19], -v[150:151]
	v_cmp_eq_u32_e64 s[12:13], 0, v212
	v_cndmask_b32_e32 v72, v72, v18, vcc
	v_cndmask_b32_e64 v70, v70, v18, s[12:13]
	v_cndmask_b32_e32 v73, v73, v19, vcc
	v_cndmask_b32_e64 v71, v71, v19, s[12:13]
	v_cmp_eq_u32_e32 vcc, 1, v213
	v_cndmask_b32_e64 v20, v20, v18, s[10:11]
	v_cndmask_b32_e64 v147, v148, v18, s[8:9]
	v_cndmask_b32_e64 v32, v32, v18, s[6:7]
	v_cndmask_b32_e64 v30, v30, v18, s[4:5]
	v_cndmask_b32_e64 v36, v36, v18, s[2:3]
	v_cndmask_b32_e64 v34, v34, v18, s[0:1]
	v_cndmask_b32_e64 v21, v21, v19, s[10:11]
	v_cndmask_b32_e64 v146, v146, v19, s[8:9]
	v_cndmask_b32_e64 v33, v33, v19, s[6:7]
	v_cndmask_b32_e64 v31, v31, v19, s[4:5]
	v_cndmask_b32_e64 v37, v37, v19, s[2:3]
	v_cndmask_b32_e64 v35, v35, v19, s[0:1]
	v_cndmask_b32_e32 v18, v71, v73, vcc
	v_cndmask_b32_e32 v19, v70, v72, vcc
	v_cmp_eq_u32_e64 s[0:1], 2, v213
	v_cndmask_b32_e64 v18, v18, v35, s[0:1]
	v_cndmask_b32_e64 v19, v19, v34, s[0:1]
	v_cmp_eq_u32_e64 s[2:3], 3, v213
	v_cndmask_b32_e64 v18, v18, v37, s[2:3]
	v_cndmask_b32_e64 v19, v19, v36, s[2:3]
	;; [unrolled: 3-line block ×5, first 2 shown]
	v_cmp_eq_u32_e64 s[10:11], 7, v213
	v_fmac_f64_e32 v[152:153], v[202:203], v[194:195]
	v_cndmask_b32_e64 v19, v18, v21, s[10:11]
	v_cndmask_b32_e64 v18, v148, v20, s[10:11]
	v_add_f64 v[18:19], v[18:19], -v[152:153]
	v_cmp_eq_u32_e64 s[12:13], 0, v213
	v_cndmask_b32_e32 v72, v72, v18, vcc
	v_cndmask_b32_e64 v148, v70, v18, s[12:13]
	v_cndmask_b32_e32 v73, v73, v19, vcc
	v_cndmask_b32_e64 v149, v71, v19, s[12:13]
	v_cmp_eq_u32_e32 vcc, 1, v214
	v_cndmask_b32_e64 v20, v20, v18, s[10:11]
	v_cndmask_b32_e64 v147, v147, v18, s[8:9]
	;; [unrolled: 1-line block ×12, first 2 shown]
	v_cndmask_b32_e32 v18, v149, v73, vcc
	v_cndmask_b32_e32 v19, v148, v72, vcc
	v_cmp_eq_u32_e64 s[0:1], 2, v214
	v_cndmask_b32_e64 v18, v18, v35, s[0:1]
	v_cndmask_b32_e64 v19, v19, v34, s[0:1]
	v_cmp_eq_u32_e64 s[2:3], 3, v214
	v_cndmask_b32_e64 v18, v18, v37, s[2:3]
	v_cndmask_b32_e64 v19, v19, v36, s[2:3]
	v_cmp_eq_u32_e64 s[4:5], 4, v214
	v_fma_f64 v[158:159], v[204:205], v[188:189], 0
	v_cndmask_b32_e64 v18, v18, v31, s[4:5]
	v_cndmask_b32_e64 v19, v19, v30, s[4:5]
	v_cmp_eq_u32_e64 s[6:7], 5, v214
	v_fmac_f64_e32 v[158:159], v[206:207], v[190:191]
	v_cndmask_b32_e64 v18, v18, v33, s[6:7]
	v_cndmask_b32_e64 v19, v19, v32, s[6:7]
	v_cmp_eq_u32_e64 s[8:9], 6, v214
	v_fmac_f64_e32 v[158:159], v[208:209], v[192:193]
	;; [unrolled: 4-line block ×3, first 2 shown]
	v_cndmask_b32_e64 v19, v18, v21, s[10:11]
	v_cndmask_b32_e64 v18, v70, v20, s[10:11]
	v_add_f64 v[70:71], v[18:19], -v[158:159]
	v_cndmask_b32_e32 v73, v73, v71, vcc
	v_cndmask_b32_e32 v72, v72, v70, vcc
	v_cmp_eq_u32_e32 vcc, 0, v214
	v_cndmask_b32_e64 v21, v21, v71, s[10:11]
	v_cndmask_b32_e64 v20, v20, v70, s[10:11]
	v_cndmask_b32_e64 v19, v146, v71, s[8:9]
	v_cndmask_b32_e64 v18, v147, v70, s[8:9]
	v_cndmask_b32_e64 v33, v33, v71, s[6:7]
	v_cndmask_b32_e64 v32, v32, v70, s[6:7]
	v_cndmask_b32_e64 v31, v31, v71, s[4:5]
	v_cndmask_b32_e64 v30, v30, v70, s[4:5]
	v_cndmask_b32_e64 v37, v37, v71, s[2:3]
	v_cndmask_b32_e64 v36, v36, v70, s[2:3]
	v_cndmask_b32_e64 v35, v35, v71, s[0:1]
	v_cndmask_b32_e64 v34, v34, v70, s[0:1]
	v_cndmask_b32_e32 v71, v149, v71, vcc
	v_cndmask_b32_e32 v70, v148, v70, vcc
	s_branch .LBB0_11
.LBB0_14:
	s_endpgm
	.section	.rodata,"a",@progbits
	.p2align	6, 0x0
	.amdhsa_kernel _ZN8rajaperf4apps10FEMSweep3DILm64EEEvPdS2_S2_S2_S2_S2_lllPlS3_S3_S3_S3_S3_S3_S3_S3_
		.amdhsa_group_segment_fixed_size 0
		.amdhsa_private_segment_fixed_size 0
		.amdhsa_kernarg_size 144
		.amdhsa_user_sgpr_count 6
		.amdhsa_user_sgpr_private_segment_buffer 1
		.amdhsa_user_sgpr_dispatch_ptr 0
		.amdhsa_user_sgpr_queue_ptr 0
		.amdhsa_user_sgpr_kernarg_segment_ptr 1
		.amdhsa_user_sgpr_dispatch_id 0
		.amdhsa_user_sgpr_flat_scratch_init 0
		.amdhsa_user_sgpr_kernarg_preload_length 0
		.amdhsa_user_sgpr_kernarg_preload_offset 0
		.amdhsa_user_sgpr_private_segment_size 0
		.amdhsa_uses_dynamic_stack 0
		.amdhsa_system_sgpr_private_segment_wavefront_offset 0
		.amdhsa_system_sgpr_workgroup_id_x 1
		.amdhsa_system_sgpr_workgroup_id_y 1
		.amdhsa_system_sgpr_workgroup_id_z 0
		.amdhsa_system_sgpr_workgroup_info 0
		.amdhsa_system_vgpr_workitem_id 0
		.amdhsa_next_free_vgpr 215
		.amdhsa_next_free_sgpr 58
		.amdhsa_accum_offset 216
		.amdhsa_reserve_vcc 1
		.amdhsa_reserve_flat_scratch 0
		.amdhsa_float_round_mode_32 0
		.amdhsa_float_round_mode_16_64 0
		.amdhsa_float_denorm_mode_32 3
		.amdhsa_float_denorm_mode_16_64 3
		.amdhsa_dx10_clamp 1
		.amdhsa_ieee_mode 1
		.amdhsa_fp16_overflow 0
		.amdhsa_tg_split 0
		.amdhsa_exception_fp_ieee_invalid_op 0
		.amdhsa_exception_fp_denorm_src 0
		.amdhsa_exception_fp_ieee_div_zero 0
		.amdhsa_exception_fp_ieee_overflow 0
		.amdhsa_exception_fp_ieee_underflow 0
		.amdhsa_exception_fp_ieee_inexact 0
		.amdhsa_exception_int_div_zero 0
	.end_amdhsa_kernel
	.section	.text._ZN8rajaperf4apps10FEMSweep3DILm64EEEvPdS2_S2_S2_S2_S2_lllPlS3_S3_S3_S3_S3_S3_S3_S3_,"axG",@progbits,_ZN8rajaperf4apps10FEMSweep3DILm64EEEvPdS2_S2_S2_S2_S2_lllPlS3_S3_S3_S3_S3_S3_S3_S3_,comdat
.Lfunc_end0:
	.size	_ZN8rajaperf4apps10FEMSweep3DILm64EEEvPdS2_S2_S2_S2_S2_lllPlS3_S3_S3_S3_S3_S3_S3_S3_, .Lfunc_end0-_ZN8rajaperf4apps10FEMSweep3DILm64EEEvPdS2_S2_S2_S2_S2_lllPlS3_S3_S3_S3_S3_S3_S3_S3_
                                        ; -- End function
	.section	.AMDGPU.csdata,"",@progbits
; Kernel info:
; codeLenInByte = 9344
; NumSgprs: 62
; NumVgprs: 215
; NumAgprs: 0
; TotalNumVgprs: 215
; ScratchSize: 0
; MemoryBound: 0
; FloatMode: 240
; IeeeMode: 1
; LDSByteSize: 0 bytes/workgroup (compile time only)
; SGPRBlocks: 7
; VGPRBlocks: 26
; NumSGPRsForWavesPerEU: 62
; NumVGPRsForWavesPerEU: 215
; AccumOffset: 216
; Occupancy: 2
; WaveLimiterHint : 1
; COMPUTE_PGM_RSRC2:SCRATCH_EN: 0
; COMPUTE_PGM_RSRC2:USER_SGPR: 6
; COMPUTE_PGM_RSRC2:TRAP_HANDLER: 0
; COMPUTE_PGM_RSRC2:TGID_X_EN: 1
; COMPUTE_PGM_RSRC2:TGID_Y_EN: 1
; COMPUTE_PGM_RSRC2:TGID_Z_EN: 0
; COMPUTE_PGM_RSRC2:TIDIG_COMP_CNT: 0
; COMPUTE_PGM_RSRC3_GFX90A:ACCUM_OFFSET: 53
; COMPUTE_PGM_RSRC3_GFX90A:TG_SPLIT: 0
	.section	.text._ZN4RAJA34launch_new_reduce_global_fcn_fixedIZN8rajaperf4apps8FEMSWEEP17runHipVariantImplILm64EEEvNS1_9VariantIDEEUlNS_14LaunchContextTINS_3hip33LaunchContextIndicesAndDimsPolicyINS7_14IndicesAndDimsILb0ELb0ELb0ELb0EEEEEEEE_Li64ENS_4expt15ForallParamPackIJEEEEEvT_T1_,"axG",@progbits,_ZN4RAJA34launch_new_reduce_global_fcn_fixedIZN8rajaperf4apps8FEMSWEEP17runHipVariantImplILm64EEEvNS1_9VariantIDEEUlNS_14LaunchContextTINS_3hip33LaunchContextIndicesAndDimsPolicyINS7_14IndicesAndDimsILb0ELb0ELb0ELb0EEEEEEEE_Li64ENS_4expt15ForallParamPackIJEEEEEvT_T1_,comdat
	.protected	_ZN4RAJA34launch_new_reduce_global_fcn_fixedIZN8rajaperf4apps8FEMSWEEP17runHipVariantImplILm64EEEvNS1_9VariantIDEEUlNS_14LaunchContextTINS_3hip33LaunchContextIndicesAndDimsPolicyINS7_14IndicesAndDimsILb0ELb0ELb0ELb0EEEEEEEE_Li64ENS_4expt15ForallParamPackIJEEEEEvT_T1_ ; -- Begin function _ZN4RAJA34launch_new_reduce_global_fcn_fixedIZN8rajaperf4apps8FEMSWEEP17runHipVariantImplILm64EEEvNS1_9VariantIDEEUlNS_14LaunchContextTINS_3hip33LaunchContextIndicesAndDimsPolicyINS7_14IndicesAndDimsILb0ELb0ELb0ELb0EEEEEEEE_Li64ENS_4expt15ForallParamPackIJEEEEEvT_T1_
	.globl	_ZN4RAJA34launch_new_reduce_global_fcn_fixedIZN8rajaperf4apps8FEMSWEEP17runHipVariantImplILm64EEEvNS1_9VariantIDEEUlNS_14LaunchContextTINS_3hip33LaunchContextIndicesAndDimsPolicyINS7_14IndicesAndDimsILb0ELb0ELb0ELb0EEEEEEEE_Li64ENS_4expt15ForallParamPackIJEEEEEvT_T1_
	.p2align	8
	.type	_ZN4RAJA34launch_new_reduce_global_fcn_fixedIZN8rajaperf4apps8FEMSWEEP17runHipVariantImplILm64EEEvNS1_9VariantIDEEUlNS_14LaunchContextTINS_3hip33LaunchContextIndicesAndDimsPolicyINS7_14IndicesAndDimsILb0ELb0ELb0ELb0EEEEEEEE_Li64ENS_4expt15ForallParamPackIJEEEEEvT_T1_,@function
_ZN4RAJA34launch_new_reduce_global_fcn_fixedIZN8rajaperf4apps8FEMSWEEP17runHipVariantImplILm64EEEvNS1_9VariantIDEEUlNS_14LaunchContextTINS_3hip33LaunchContextIndicesAndDimsPolicyINS7_14IndicesAndDimsILb0ELb0ELb0ELb0EEEEEEEE_Li64ENS_4expt15ForallParamPackIJEEEEEvT_T1_: ; @_ZN4RAJA34launch_new_reduce_global_fcn_fixedIZN8rajaperf4apps8FEMSWEEP17runHipVariantImplILm64EEEvNS1_9VariantIDEEUlNS_14LaunchContextTINS_3hip33LaunchContextIndicesAndDimsPolicyINS7_14IndicesAndDimsILb0ELb0ELb0ELb0EEEEEEEE_Li64ENS_4expt15ForallParamPackIJEEEEEvT_T1_
; %bb.0:
	s_load_dwordx16 s[8:23], s[4:5], 0x8
	s_mov_b32 s0, s7
	s_mov_b32 s1, 0
	s_lshl_b64 s[2:3], s[0:1], 3
	v_mov_b32_e32 v2, 0
	s_waitcnt lgkmcnt(0)
	s_add_u32 s26, s10, s2
	s_addc_u32 s27, s11, s3
	s_add_u32 s24, s12, s2
	s_addc_u32 s25, s13, s3
	s_mul_i32 s2, s19, s7
	s_mul_hi_u32 s3, s18, s7
	s_add_i32 s11, s3, s2
	s_mul_i32 s10, s18, s7
	s_lshl_b64 s[2:3], s[10:11], 3
	s_add_u32 s12, s16, s2
	s_addc_u32 s13, s17, s3
	s_load_dwordx2 s[12:13], s[12:13], 0x0
	v_mov_b32_e32 v3, 0x41d00000
	s_waitcnt lgkmcnt(0)
	s_add_u32 s12, s12, s10
	s_addc_u32 s13, s13, s11
	s_lshl_b64 s[12:13], s[12:13], 9
	s_add_u32 s12, s14, s12
	s_addc_u32 s13, s15, s13
	s_load_dwordx2 s[12:13], s[12:13], 0x0
	s_waitcnt lgkmcnt(0)
	v_cmp_nlt_f64_e64 s[28:29], |s[12:13]|, v[2:3]
	s_and_b64 vcc, exec, s[28:29]
	s_cbranch_vccz .LBB1_2
; %bb.1:
	v_mov_b32_e32 v6, 0
	s_and_b32 s7, s13, 0x7fffffff
	v_mov_b32_e32 v7, 0x7b000000
	v_mov_b32_e32 v1, 0xffffff80
	v_ldexp_f64 v[8:9], |s[12:13]|, v1
	v_mov_b32_e32 v1, s7
	v_cmp_ge_f64_e64 vcc, |s[12:13]|, v[6:7]
	v_cndmask_b32_e32 v7, v1, v9, vcc
	v_mov_b32_e32 v1, s12
	v_trig_preop_f64 v[2:3], |s[12:13]|, 0
	v_cndmask_b32_e32 v6, v1, v8, vcc
	v_trig_preop_f64 v[4:5], |s[12:13]|, 1
	v_mul_f64 v[10:11], v[2:3], v[6:7]
	v_mul_f64 v[8:9], v[4:5], v[6:7]
	v_fma_f64 v[2:3], v[2:3], v[6:7], -v[10:11]
	v_add_f64 v[12:13], v[8:9], v[2:3]
	v_add_f64 v[14:15], v[10:11], v[12:13]
	s_mov_b32 s28, 0
	v_ldexp_f64 v[16:17], v[14:15], -2
	s_mov_b32 s29, 0x7ff00000
	v_fract_f64_e32 v[18:19], v[16:17]
	v_cmp_neq_f64_e64 vcc, |v[16:17]|, s[28:29]
	v_cndmask_b32_e32 v17, 0, v19, vcc
	v_cndmask_b32_e32 v16, 0, v18, vcc
	v_add_f64 v[18:19], v[12:13], -v[8:9]
	v_add_f64 v[2:3], v[2:3], -v[18:19]
	v_add_f64 v[18:19], v[12:13], -v[18:19]
	v_add_f64 v[18:19], v[8:9], -v[18:19]
	v_fma_f64 v[4:5], v[4:5], v[6:7], -v[8:9]
	v_trig_preop_f64 v[8:9], |s[12:13]|, 2
	v_add_f64 v[2:3], v[2:3], v[18:19]
	v_mul_f64 v[18:19], v[8:9], v[6:7]
	v_add_f64 v[20:21], v[18:19], v[4:5]
	v_add_f64 v[22:23], v[20:21], v[2:3]
	v_add_f64 v[10:11], v[14:15], -v[10:11]
	v_add_f64 v[14:15], v[22:23], -v[20:21]
	;; [unrolled: 1-line block ×5, first 2 shown]
	v_add_f64 v[2:3], v[2:3], v[14:15]
	v_add_f64 v[14:15], v[20:21], -v[18:19]
	v_add_f64 v[4:5], v[4:5], -v[14:15]
	;; [unrolled: 1-line block ×4, first 2 shown]
	v_add_f64 v[4:5], v[4:5], v[14:15]
	v_add_f64 v[10:11], v[12:13], -v[10:11]
	v_add_f64 v[2:3], v[4:5], v[2:3]
	v_fma_f64 v[4:5], v[8:9], v[6:7], -v[18:19]
	v_add_f64 v[12:13], v[10:11], v[22:23]
	v_add_f64 v[2:3], v[4:5], v[2:3]
	v_ldexp_f64 v[4:5], v[16:17], 2
	v_add_f64 v[6:7], v[12:13], v[4:5]
	v_cmp_gt_f64_e32 vcc, 0, v[6:7]
	s_and_b64 s[30:31], vcc, exec
	s_cselect_b32 s31, 0x40100000, 0
	s_mov_b32 s30, s1
	v_add_f64 v[4:5], v[4:5], s[30:31]
	v_add_f64 v[6:7], v[12:13], v[4:5]
	v_cvt_i32_f64_e32 v1, v[6:7]
	v_cvt_f64_i32_e32 v[6:7], v1
	v_add_f64 v[4:5], v[4:5], -v[6:7]
	v_add_f64 v[6:7], v[12:13], v[4:5]
	v_cmp_le_f64_e32 vcc, 0.5, v[6:7]
	v_readfirstlane_b32 s7, v1
	s_cmp_lg_u64 vcc, 0
	v_add_f64 v[10:11], v[12:13], -v[10:11]
	s_addc_u32 s7, s7, 0
	v_add_f64 v[10:11], v[22:23], -v[10:11]
	v_add_f64 v[4:5], v[6:7], -v[4:5]
	s_and_b64 s[30:31], vcc, exec
	v_add_f64 v[2:3], v[10:11], v[2:3]
	v_add_f64 v[4:5], v[12:13], -v[4:5]
	s_cselect_b32 s31, 0x3ff00000, 0
	s_mov_b32 s30, s1
	v_add_f64 v[2:3], v[2:3], v[4:5]
	v_add_f64 v[4:5], v[6:7], -s[30:31]
	v_add_f64 v[6:7], v[4:5], v[2:3]
	s_mov_b32 s30, 0x54442d18
	v_add_f64 v[4:5], v[6:7], -v[4:5]
	s_mov_b32 s31, 0x3ff921fb
	v_add_f64 v[2:3], v[2:3], -v[4:5]
	v_mul_f64 v[4:5], v[6:7], s[30:31]
	s_mov_b32 s34, 0x33145c07
	v_fma_f64 v[8:9], v[6:7], s[30:31], -v[4:5]
	s_mov_b32 s35, 0x3c91a626
	v_fmac_f64_e32 v[8:9], s[34:35], v[6:7]
	v_fmac_f64_e32 v[8:9], s[30:31], v[2:3]
	v_add_f64 v[2:3], v[4:5], v[8:9]
	v_add_f64 v[4:5], v[2:3], -v[4:5]
	s_mov_b64 s[28:29], 0
	v_add_f64 v[4:5], v[8:9], -v[4:5]
	s_branch .LBB1_3
.LBB1_2:
	s_mov_b64 s[28:29], -1
                                        ; implicit-def: $sgpr7
                                        ; implicit-def: $vgpr2_vgpr3
                                        ; implicit-def: $vgpr4_vgpr5
.LBB1_3:
	s_load_dwordx2 s[26:27], s[26:27], 0x0
                                        ; implicit-def: $vgpr252 : SGPR spill to VGPR lane
	s_andn2_b64 vcc, exec, s[28:29]
	s_waitcnt lgkmcnt(0)
	v_writelane_b32 v252, s26, 0
	v_writelane_b32 v252, s27, 1
	s_cbranch_vccnz .LBB1_5
; %bb.4:
	v_mov_b32_e32 v2, 0x6dc9c883
	v_mov_b32_e32 v3, 0x3fe45f30
	v_mul_f64 v[2:3], |s[12:13]|, v[2:3]
	s_mov_b32 s26, 0x54442d18
	v_rndne_f64_e32 v[6:7], v[2:3]
	s_mov_b32 s27, 0xbff921fb
	v_pk_mov_b32 v[2:3], s[12:13], s[12:13] op_sel:[0,1]
	v_fma_f64 v[2:3], v[6:7], s[26:27], |v[2:3]|
	s_mov_b32 s27, 0xbc91a626
	s_mov_b32 s26, 0x33145c00
	v_mul_f64 v[8:9], v[6:7], s[26:27]
	v_add_f64 v[12:13], v[2:3], v[8:9]
	v_fma_f64 v[4:5], s[26:27], v[6:7], v[2:3]
	s_mov_b32 s27, 0x3c91a626
	v_add_f64 v[2:3], v[2:3], -v[12:13]
	v_fma_f64 v[10:11], s[26:27], v[6:7], v[8:9]
	v_add_f64 v[2:3], v[2:3], v[8:9]
	v_add_f64 v[8:9], v[12:13], -v[4:5]
	v_add_f64 v[2:3], v[8:9], v[2:3]
	s_mov_b32 s26, 0x252049c0
	v_add_f64 v[8:9], v[2:3], -v[10:11]
	s_mov_b32 s27, 0xb97b839a
	v_fmac_f64_e32 v[8:9], s[26:27], v[6:7]
	v_add_f64 v[2:3], v[4:5], v[8:9]
	v_add_f64 v[4:5], v[2:3], -v[4:5]
	v_cvt_i32_f64_e32 v1, v[6:7]
	v_add_f64 v[4:5], v[8:9], -v[4:5]
	v_readfirstlane_b32 s7, v1
.LBB1_5:
	v_readlane_b32 s26, v252, 0
	v_readlane_b32 s27, v252, 1
	v_cmp_lt_i64_e64 s[26:27], s[26:27], 1
	s_and_b64 vcc, exec, s[26:27]
	s_cbranch_vccnz .LBB1_23
; %bb.6:
	s_load_dwordx16 s[64:79], s[4:5], 0x48
	s_load_dwordx4 s[60:63], s[4:5], 0x88
                                        ; kill: killed $sgpr4_sgpr5
	s_nop 0
	s_load_dwordx2 s[4:5], s[24:25], 0x0
	s_mov_b32 s24, 0x46cc5e42
	v_mul_f64 v[6:7], v[2:3], v[2:3]
	v_mov_b32_e32 v14, 0x9037ab78
	v_mov_b32_e32 v15, 0x3e21eeb6
	s_mov_b32 s25, 0xbda907db
	v_mul_f64 v[8:9], v[6:7], 0.5
	v_fmac_f64_e32 v[14:15], s[24:25], v[6:7]
	v_mov_b32_e32 v16, 0xa17f65f6
	v_mov_b32_e32 v17, 0xbe927e4f
	v_add_f64 v[10:11], -v[8:9], 1.0
	v_fmac_f64_e32 v[16:17], v[6:7], v[14:15]
	v_mov_b32_e32 v14, 0x19f4ec90
	v_mov_b32_e32 v15, 0x3efa01a0
	v_add_f64 v[12:13], -v[10:11], 1.0
	v_fmac_f64_e32 v[14:15], v[6:7], v[16:17]
	v_mov_b32_e32 v16, 0x16c16967
	v_mov_b32_e32 v17, 0xbf56c16c
	v_add_f64 v[8:9], v[12:13], -v[8:9]
	v_fmac_f64_e32 v[16:17], v[6:7], v[14:15]
	v_mov_b32_e32 v14, 0x55555555
	v_mov_b32_e32 v15, 0x3fa55555
	v_mul_f64 v[12:13], v[6:7], v[6:7]
	v_fmac_f64_e32 v[14:15], v[6:7], v[16:17]
	v_fma_f64 v[8:9], v[2:3], -v[4:5], v[8:9]
	v_fmac_f64_e32 v[8:9], v[12:13], v[14:15]
	s_mov_b32 s26, 0xf9a43bb8
	v_add_f64 v[8:9], v[10:11], v[8:9]
	v_mov_b32_e32 v10, 0xb42fdfa7
	v_mov_b32_e32 v11, 0xbe5ae600
	s_mov_b32 s27, 0x3de5e0b2
	v_fmac_f64_e32 v[10:11], s[26:27], v[6:7]
	v_mov_b32_e32 v12, 0x796cde01
	v_mov_b32_e32 v13, 0x3ec71de3
	v_fmac_f64_e32 v[12:13], v[6:7], v[10:11]
	v_mov_b32_e32 v10, 0x19e83e5c
	v_mov_b32_e32 v11, 0xbf2a01a0
	v_fmac_f64_e32 v[10:11], v[6:7], v[12:13]
	v_mov_b32_e32 v12, 0x11110bb3
	v_mov_b32_e32 v13, 0x3f811111
	v_fmac_f64_e32 v[12:13], v[6:7], v[10:11]
	v_mul_f64 v[10:11], v[2:3], -v[6:7]
	v_mul_f64 v[14:15], v[4:5], 0.5
	s_mov_b32 s24, 0x55555555
	v_fmac_f64_e32 v[14:15], v[10:11], v[12:13]
	s_bitcmp0_b32 s7, 0
	s_mov_b32 s25, 0xbfc55555
	v_fma_f64 v[4:5], v[6:7], v[14:15], -v[4:5]
	s_cselect_b64 vcc, -1, 0
	s_lshl_b32 s1, s7, 30
	v_fmac_f64_e32 v[4:5], s[24:25], v[10:11]
	s_xor_b32 s1, s1, s13
	v_add_f64 v[2:3], v[2:3], -v[4:5]
	s_and_b32 s1, s1, 0x80000000
	s_waitcnt lgkmcnt(0)
	s_lshl_b64 s[4:5], s[4:5], 3
	v_cndmask_b32_e32 v1, v8, v2, vcc
	v_cndmask_b32_e32 v2, v9, v3, vcc
	s_add_u32 s24, s20, s4
	v_xor_b32_e32 v3, s1, v2
	s_addc_u32 s1, s21, s5
	v_writelane_b32 v252, s1, 2
	s_mul_i32 s1, s0, s19
	s_mul_hi_u32 s4, s0, s18
	s_add_i32 s1, s4, s1
	s_mul_i32 s4, s8, s11
	s_mul_hi_u32 s5, s8, s10
	v_mov_b32_e32 v2, 0x1f8
	s_add_i32 s4, s5, s4
	s_mul_i32 s5, s9, s10
	v_cmp_class_f64_e32 vcc, s[12:13], v2
	s_add_i32 s5, s4, s5
	s_lshl_b64 s[12:13], s[10:11], 6
	s_add_u32 s89, s22, s12
	s_addc_u32 s90, s23, s13
	s_lshl_b64 s[12:13], s[10:11], 9
	s_add_u32 s91, s14, s12
	s_mul_i32 s7, s11, 48
	s_mul_hi_u32 s11, s10, 48
	s_addc_u32 s92, s15, s13
	s_add_i32 s11, s11, s7
	s_mul_i32 s7, s10, 48
	s_mul_i32 s4, s8, s10
	s_add_u32 s70, s70, s7
	s_mul_i32 s7, s19, s6
	s_mul_hi_u32 s10, s18, s6
	s_addc_u32 s71, s71, s11
	s_add_i32 s7, s10, s7
	s_mul_i32 s6, s18, s6
	s_lshl_b64 s[10:11], s[6:7], 3
	s_add_u32 s93, s60, s10
	s_addc_u32 s94, s61, s11
	s_lshl_b64 s[6:7], s[6:7], 6
	s_mul_i32 s20, s0, s18
	s_add_u32 s10, s78, s6
	s_addc_u32 s11, s79, s7
	s_mul_i32 s6, s20, s9
	s_mul_hi_u32 s7, s20, s8
	s_mul_i32 s1, s1, s8
	s_add_i32 s6, s7, s6
	s_add_i32 s7, s6, s1
	s_mul_i32 s6, s20, s8
	s_lshl_b64 s[6:7], s[6:7], 6
	s_add_u32 s95, s10, s6
	s_addc_u32 s33, s11, s7
	s_lshl_b64 s[4:5], s[4:5], 6
	s_add_u32 s88, s10, s4
	s_mul_i32 s1, s0, s77
	s_mul_hi_u32 s4, s0, s76
	s_addc_u32 s80, s11, s5
	s_add_i32 s1, s4, s1
	s_mul_i32 s0, s0, s76
	s_lshl_b64 s[0:1], s[0:1], 8
	v_cndmask_b32_e32 v2, 0, v1, vcc
	v_mov_b32_e32 v1, 0x7ff80000
	s_add_u32 s81, s74, s0
	v_cndmask_b32_e32 v3, v1, v3, vcc
	s_addc_u32 s78, s75, s1
	v_add_f64 v[2:3], v[2:3], -2.0
	s_add_u32 s0, s16, s2
	v_max_f64 v[226:227], v[2:3], 0
	v_lshlrev_b32_e32 v2, 3, v0
	s_addc_u32 s1, s17, s3
	v_mov_b32_e32 v3, s1
	v_add_co_u32_e32 v238, vcc, s0, v2
	s_mov_b64 s[82:83], 0
	v_mov_b32_e32 v1, 0
	s_mov_b32 s79, s24
	v_addc_co_u32_e32 v239, vcc, 0, v3, vcc
	s_mov_b64 s[74:75], 0
	s_branch .LBB1_8
.LBB1_7:                                ;   in Loop: Header=BB1_8 Depth=1
	v_readlane_b32 s0, v252, 3
	v_readlane_b32 s1, v252, 4
	s_or_b64 exec, exec, s[0:1]
	s_add_u32 s74, s76, s74
	s_addc_u32 s75, s77, s75
	s_add_u32 s82, s82, 1
	v_readlane_b32 s0, v252, 0
	s_addc_u32 s83, s83, 0
	v_readlane_b32 s1, v252, 1
	s_cmp_lg_u64 s[82:83], s[0:1]
	s_waitcnt lgkmcnt(0)
	; wave barrier
	s_cbranch_scc0 .LBB1_23
.LBB1_8:                                ; =>This Loop Header: Depth=1
                                        ;     Child Loop BB1_11 Depth 2
	s_lshl_b64 s[0:1], s[82:83], 3
	s_add_u32 s0, s79, s0
	v_readlane_b32 s2, v252, 2
	s_addc_u32 s1, s2, s1
	s_load_dwordx2 s[76:77], s[0:1], 0x0
	s_waitcnt lgkmcnt(0)
	v_cmp_gt_i64_e32 vcc, s[76:77], v[0:1]
	s_mov_b64 s[0:1], exec
	v_writelane_b32 v252, s0, 3
	v_writelane_b32 v252, s1, 4
	s_and_b64 s[0:1], s[0:1], vcc
	s_mov_b64 exec, s[0:1]
	s_cbranch_execz .LBB1_7
; %bb.9:                                ;   in Loop: Header=BB1_8 Depth=1
	s_lshl_b64 s[0:1], s[74:75], 3
	v_mov_b32_e32 v2, s1
	v_add_co_u32_e32 v228, vcc, s0, v238
	v_addc_co_u32_e32 v229, vcc, v239, v2, vcc
	s_mov_b64 s[84:85], 0
	v_pk_mov_b32 v[230:231], v[0:1], v[0:1] op_sel:[0,1]
	s_branch .LBB1_11
.LBB1_10:                               ;   in Loop: Header=BB1_11 Depth=2
	s_or_b64 exec, exec, s[14:15]
	v_lshlrev_b64 v[146:147], 3, v[170:171]
	v_add_co_u32_e32 v146, vcc, s93, v146
	v_mov_b32_e32 v148, s94
	v_addc_co_u32_e32 v147, vcc, v148, v147, vcc
	global_load_dwordx2 v[234:235], v[146:147], off
	v_add_co_u32_e32 v236, vcc, s62, v172
	v_mov_b32_e32 v146, s63
	v_addc_co_u32_e32 v237, vcc, v146, v173, vcc
	global_load_dwordx4 v[218:221], v[236:237], off
	global_load_dwordx4 v[202:205], v[236:237], off offset:16
	global_load_dwordx4 v[182:185], v[236:237], off offset:32
	;; [unrolled: 1-line block ×22, first 2 shown]
	s_waitcnt vmcnt(22)
	v_fmac_f64_e32 v[30:31], v[234:235], v[218:219]
	v_fmac_f64_e32 v[32:33], v[234:235], v[220:221]
	global_load_dwordx4 v[218:221], v[236:237], off offset:336
	s_waitcnt vmcnt(22)
	v_fmac_f64_e32 v[142:143], v[234:235], v[202:203]
	v_fmac_f64_e32 v[144:145], v[234:235], v[204:205]
	global_load_dwordx4 v[202:205], v[236:237], off offset:320
	;; [unrolled: 4-line block ×7, first 2 shown]
	s_waitcnt vmcnt(22)
	v_fmac_f64_e32 v[118:119], v[234:235], v[146:147]
	v_fmac_f64_e32 v[120:121], v[234:235], v[148:149]
	s_waitcnt vmcnt(21)
	v_fmac_f64_e32 v[26:27], v[234:235], v[162:163]
	v_fmac_f64_e32 v[28:29], v[234:235], v[164:165]
	global_load_dwordx4 v[162:165], v[236:237], off offset:480
	global_load_dwordx4 v[146:149], v[236:237], off offset:496
	s_waitcnt vmcnt(20)
	v_fmac_f64_e32 v[98:99], v[234:235], v[150:151]
	v_div_scale_f64 v[150:151], s[0:1], v[30:31], v[30:31], v[32:33]
	v_fmac_f64_e32 v[100:101], v[234:235], v[152:153]
	v_rcp_f64_e32 v[152:153], v[150:151]
	v_fmac_f64_e32 v[106:107], v[234:235], v[154:155]
	v_fmac_f64_e32 v[108:109], v[234:235], v[156:157]
	s_waitcnt vmcnt(19)
	v_fmac_f64_e32 v[22:23], v[234:235], v[214:215]
	v_fmac_f64_e32 v[24:25], v[234:235], v[216:217]
	s_waitcnt vmcnt(12)
	v_fmac_f64_e32 v[18:19], v[234:235], v[222:223]
	v_fmac_f64_e32 v[20:21], v[234:235], v[224:225]
	;; [unrolled: 1-line block ×13, first 2 shown]
	s_waitcnt vmcnt(10)
	v_fmac_f64_e32 v[54:55], v[234:235], v[244:245]
	v_fmac_f64_e32 v[64:65], v[234:235], v[192:193]
	;; [unrolled: 1-line block ×7, first 2 shown]
	s_waitcnt vmcnt(9)
	v_fmac_f64_e32 v[78:79], v[234:235], v[248:249]
	v_fmac_f64_e32 v[80:81], v[234:235], v[250:251]
	s_waitcnt vmcnt(8)
	v_fmac_f64_e32 v[86:87], v[234:235], v[218:219]
	v_fmac_f64_e32 v[88:89], v[234:235], v[220:221]
	;; [unrolled: 3-line block ×8, first 2 shown]
	s_waitcnt vmcnt(1)
	v_fmac_f64_e32 v[42:43], v[234:235], v[162:163]
	s_waitcnt vmcnt(0)
	v_fmac_f64_e32 v[6:7], v[234:235], v[146:147]
	v_fma_f64 v[146:147], -v[150:151], v[152:153], 1.0
	v_fmac_f64_e32 v[152:153], v[152:153], v[146:147]
	v_fma_f64 v[146:147], -v[150:151], v[152:153], 1.0
	v_fmac_f64_e32 v[152:153], v[152:153], v[146:147]
	v_div_scale_f64 v[146:147], vcc, v[32:33], v[30:31], v[32:33]
	v_mul_f64 v[154:155], v[146:147], v[152:153]
	v_fma_f64 v[146:147], -v[150:151], v[154:155], v[146:147]
	v_div_scale_f64 v[150:151], s[0:1], v[30:31], v[30:31], v[142:143]
	v_rcp_f64_e32 v[156:157], v[150:151]
	v_div_fmas_f64 v[146:147], v[146:147], v[152:153], v[154:155]
	v_div_fixup_f64 v[32:33], v[146:147], v[30:31], v[32:33]
	v_fmac_f64_e32 v[44:45], v[234:235], v[164:165]
	v_fma_f64 v[146:147], -v[150:151], v[156:157], 1.0
	v_fmac_f64_e32 v[156:157], v[156:157], v[146:147]
	v_fma_f64 v[146:147], -v[150:151], v[156:157], 1.0
	v_fmac_f64_e32 v[156:157], v[156:157], v[146:147]
	v_div_scale_f64 v[146:147], vcc, v[142:143], v[30:31], v[142:143]
	v_mul_f64 v[152:153], v[146:147], v[156:157]
	v_fma_f64 v[146:147], -v[150:151], v[152:153], v[146:147]
	v_div_scale_f64 v[150:151], s[0:1], v[30:31], v[30:31], v[144:145]
	v_rcp_f64_e32 v[154:155], v[150:151]
	v_div_fmas_f64 v[146:147], v[146:147], v[156:157], v[152:153]
	v_div_fixup_f64 v[142:143], v[146:147], v[30:31], v[142:143]
	;; [unrolled: 12-line block ×3, first 2 shown]
	v_fma_f64 v[146:147], -v[150:151], v[156:157], 1.0
	v_fmac_f64_e32 v[156:157], v[156:157], v[146:147]
	v_fma_f64 v[146:147], -v[150:151], v[156:157], 1.0
	v_fmac_f64_e32 v[156:157], v[156:157], v[146:147]
	v_div_scale_f64 v[146:147], vcc, v[138:139], v[30:31], v[138:139]
	v_mul_f64 v[152:153], v[146:147], v[156:157]
	v_fma_f64 v[146:147], -v[150:151], v[152:153], v[146:147]
	v_div_scale_f64 v[150:151], s[0:1], v[30:31], v[30:31], v[140:141]
	v_rcp_f64_e32 v[154:155], v[150:151]
	v_div_fmas_f64 v[146:147], v[146:147], v[156:157], v[152:153]
	v_div_fixup_f64 v[138:139], v[146:147], v[30:31], v[138:139]
	v_fma_f64 v[146:147], -v[150:151], v[154:155], 1.0
	v_fmac_f64_e32 v[154:155], v[154:155], v[146:147]
	v_fma_f64 v[146:147], -v[150:151], v[154:155], 1.0
	v_fmac_f64_e32 v[154:155], v[154:155], v[146:147]
	v_div_scale_f64 v[146:147], vcc, v[140:141], v[30:31], v[140:141]
	v_mul_f64 v[152:153], v[146:147], v[154:155]
	v_fma_f64 v[146:147], -v[150:151], v[152:153], v[146:147]
	v_div_scale_f64 v[150:151], s[0:1], v[30:31], v[30:31], v[134:135]
	v_rcp_f64_e32 v[156:157], v[150:151]
	v_div_fmas_f64 v[146:147], v[146:147], v[154:155], v[152:153]
	v_div_fixup_f64 v[140:141], v[146:147], v[30:31], v[140:141]
	;; [unrolled: 11-line block ×3, first 2 shown]
	v_fma_f64 v[146:147], -v[150:151], v[154:155], 1.0
	v_fmac_f64_e32 v[154:155], v[154:155], v[146:147]
	v_fma_f64 v[146:147], -v[150:151], v[154:155], 1.0
	v_fmac_f64_e32 v[154:155], v[154:155], v[146:147]
	v_div_scale_f64 v[146:147], vcc, v[136:137], v[30:31], v[136:137]
	v_mul_f64 v[152:153], v[146:147], v[154:155]
	v_fma_f64 v[146:147], -v[150:151], v[152:153], v[146:147]
	s_nop 1
	v_div_fmas_f64 v[146:147], v[146:147], v[154:155], v[152:153]
	v_div_fixup_f64 v[136:137], v[146:147], v[30:31], v[136:137]
	v_fma_f64 v[146:147], v[32:33], v[34:35], 0
	v_add_f64 v[156:157], v[36:37], -v[146:147]
	v_fma_f64 v[36:37], v[32:33], v[26:27], 0
	v_add_f64 v[154:155], v[28:29], -v[36:37]
	;; [unrolled: 2-line block ×6, first 2 shown]
	v_div_scale_f64 v[28:29], s[0:1], v[156:157], v[156:157], v[24:25]
	v_rcp_f64_e32 v[130:131], v[28:29]
	v_fma_f64 v[16:17], v[32:33], v[10:11], 0
	v_add_f64 v[36:37], v[12:13], -v[16:17]
	v_fma_f64 v[12:13], v[32:33], v[2:3], 0
	v_add_f64 v[20:21], v[4:5], -v[12:13]
	v_fma_f64 v[4:5], -v[28:29], v[130:131], 1.0
	v_fmac_f64_e32 v[130:131], v[130:131], v[4:5]
	v_fma_f64 v[4:5], -v[28:29], v[130:131], 1.0
	v_fmac_f64_e32 v[130:131], v[130:131], v[4:5]
	v_div_scale_f64 v[4:5], vcc, v[24:25], v[156:157], v[24:25]
	v_fma_f64 v[16:17], v[144:145], v[34:35], 0
	v_mul_f64 v[12:13], v[4:5], v[130:131]
	v_add_f64 v[16:17], v[132:133], -v[16:17]
	v_fma_f64 v[4:5], -v[28:29], v[12:13], v[4:5]
	v_div_scale_f64 v[28:29], s[0:1], v[156:157], v[156:157], v[16:17]
	v_rcp_f64_e32 v[132:133], v[28:29]
	v_div_fmas_f64 v[4:5], v[4:5], v[130:131], v[12:13]
	v_div_fixup_f64 v[4:5], v[4:5], v[156:157], v[24:25]
	v_fma_f64 v[12:13], -v[28:29], v[132:133], 1.0
	v_fmac_f64_e32 v[132:133], v[132:133], v[12:13]
	v_fma_f64 v[12:13], -v[28:29], v[132:133], 1.0
	v_fmac_f64_e32 v[132:133], v[132:133], v[12:13]
	v_div_scale_f64 v[12:13], vcc, v[16:17], v[156:157], v[16:17]
	v_mul_f64 v[24:25], v[12:13], v[132:133]
	v_fma_f64 v[12:13], -v[28:29], v[24:25], v[12:13]
	v_fma_f64 v[28:29], v[138:139], v[34:35], 0
	v_add_f64 v[28:29], v[126:127], -v[28:29]
	v_div_scale_f64 v[126:127], s[0:1], v[156:157], v[156:157], v[28:29]
	v_rcp_f64_e32 v[130:131], v[126:127]
	v_div_fmas_f64 v[12:13], v[12:13], v[132:133], v[24:25]
	v_div_fixup_f64 v[12:13], v[12:13], v[156:157], v[16:17]
	v_fma_f64 v[16:17], -v[126:127], v[130:131], 1.0
	v_fmac_f64_e32 v[130:131], v[130:131], v[16:17]
	v_fma_f64 v[16:17], -v[126:127], v[130:131], 1.0
	v_fmac_f64_e32 v[130:131], v[130:131], v[16:17]
	v_div_scale_f64 v[16:17], vcc, v[28:29], v[156:157], v[28:29]
	v_mul_f64 v[24:25], v[16:17], v[130:131]
	v_fma_f64 v[16:17], -v[126:127], v[24:25], v[16:17]
	v_fma_f64 v[126:127], v[140:141], v[34:35], 0
	v_add_f64 v[126:127], v[128:129], -v[126:127]
	;; [unrolled: 13-line block ×4, first 2 shown]
	v_div_scale_f64 v[128:129], s[0:1], v[156:157], v[156:157], v[120:121]
	v_rcp_f64_e32 v[132:133], v[128:129]
	v_div_fmas_f64 v[28:29], v[28:29], v[130:131], v[126:127]
	v_div_fixup_f64 v[28:29], v[28:29], v[156:157], v[118:119]
	v_fma_f64 v[118:119], -v[128:129], v[132:133], 1.0
	v_fmac_f64_e32 v[132:133], v[132:133], v[118:119]
	v_fma_f64 v[118:119], -v[128:129], v[132:133], 1.0
	v_fmac_f64_e32 v[132:133], v[132:133], v[118:119]
	v_div_scale_f64 v[118:119], vcc, v[120:121], v[156:157], v[120:121]
	v_mul_f64 v[126:127], v[118:119], v[132:133]
	v_fma_f64 v[118:119], -v[128:129], v[126:127], v[118:119]
	s_nop 1
	v_div_fmas_f64 v[118:119], v[118:119], v[132:133], v[126:127]
	v_div_fixup_f64 v[118:119], v[118:119], v[156:157], v[120:121]
	v_fma_f64 v[120:121], v[142:143], v[26:27], 0
	v_fmac_f64_e32 v[120:121], v[4:5], v[154:155]
	v_add_f64 v[128:129], v[110:111], -v[120:121]
	v_fma_f64 v[110:111], v[142:143], v[22:23], 0
	v_fmac_f64_e32 v[110:111], v[4:5], v[152:153]
	v_add_f64 v[126:127], v[94:95], -v[110:111]
	;; [unrolled: 3-line block ×6, first 2 shown]
	v_div_scale_f64 v[90:91], s[0:1], v[128:129], v[128:129], v[82:83]
	v_rcp_f64_e32 v[112:113], v[90:91]
	v_fma_f64 v[86:87], v[142:143], v[2:3], 0
	v_fmac_f64_e32 v[86:87], v[4:5], v[20:21]
	v_add_f64 v[86:87], v[78:79], -v[86:87]
	v_fma_f64 v[78:79], -v[90:91], v[112:113], 1.0
	v_fmac_f64_e32 v[112:113], v[112:113], v[78:79]
	v_fma_f64 v[78:79], -v[90:91], v[112:113], 1.0
	v_fmac_f64_e32 v[112:113], v[112:113], v[78:79]
	v_div_scale_f64 v[78:79], vcc, v[82:83], v[128:129], v[82:83]
	v_mul_f64 v[130:131], v[78:79], v[112:113]
	v_fma_f64 v[78:79], -v[90:91], v[130:131], v[78:79]
	v_fma_f64 v[90:91], v[138:139], v[26:27], 0
	v_fmac_f64_e32 v[90:91], v[16:17], v[154:155]
	v_add_f64 v[90:91], v[106:107], -v[90:91]
	v_div_scale_f64 v[106:107], s[0:1], v[128:129], v[128:129], v[90:91]
	v_rcp_f64_e32 v[132:133], v[106:107]
	v_div_fmas_f64 v[78:79], v[78:79], v[112:113], v[130:131]
	v_div_fixup_f64 v[78:79], v[78:79], v[128:129], v[82:83]
	v_fma_f64 v[82:83], -v[106:107], v[132:133], 1.0
	v_fmac_f64_e32 v[132:133], v[132:133], v[82:83]
	v_fma_f64 v[82:83], -v[106:107], v[132:133], 1.0
	v_fmac_f64_e32 v[132:133], v[132:133], v[82:83]
	v_div_scale_f64 v[82:83], vcc, v[90:91], v[128:129], v[90:91]
	v_mul_f64 v[112:113], v[82:83], v[132:133]
	v_fma_f64 v[82:83], -v[106:107], v[112:113], v[82:83]
	v_fma_f64 v[106:107], v[140:141], v[26:27], 0
	v_fmac_f64_e32 v[106:107], v[24:25], v[154:155]
	v_add_f64 v[106:107], v[108:109], -v[106:107]
	v_div_scale_f64 v[108:109], s[0:1], v[128:129], v[128:129], v[106:107]
	v_rcp_f64_e32 v[130:131], v[108:109]
	v_div_fmas_f64 v[82:83], v[82:83], v[132:133], v[112:113]
	v_div_fixup_f64 v[82:83], v[82:83], v[128:129], v[90:91]
	;; [unrolled: 14-line block ×4, first 2 shown]
	v_fma_f64 v[106:107], -v[108:109], v[130:131], 1.0
	v_fmac_f64_e32 v[130:131], v[130:131], v[106:107]
	v_fma_f64 v[106:107], -v[108:109], v[130:131], 1.0
	v_fmac_f64_e32 v[130:131], v[130:131], v[106:107]
	v_div_scale_f64 v[106:107], vcc, v[100:101], v[128:129], v[100:101]
	v_mul_f64 v[112:113], v[106:107], v[130:131]
	v_fma_f64 v[106:107], -v[108:109], v[112:113], v[106:107]
	v_fma_f64 v[108:109], v[138:139], v[22:23], 0
	s_nop 0
	v_div_fmas_f64 v[106:107], v[106:107], v[130:131], v[112:113]
	v_div_fixup_f64 v[100:101], v[106:107], v[128:129], v[100:101]
	v_fma_f64 v[106:107], v[144:145], v[22:23], 0
	v_fmac_f64_e32 v[106:107], v[12:13], v[152:153]
	v_fmac_f64_e32 v[106:107], v[78:79], v[126:127]
	v_add_f64 v[96:97], v[96:97], -v[106:107]
	v_fma_f64 v[106:107], v[144:145], v[18:19], 0
	v_fmac_f64_e32 v[106:107], v[12:13], v[150:151]
	v_fmac_f64_e32 v[106:107], v[78:79], v[120:121]
	v_add_f64 v[92:93], v[92:93], -v[106:107]
	v_fma_f64 v[106:107], v[144:145], v[14:15], 0
	v_fmac_f64_e32 v[106:107], v[12:13], v[146:147]
	v_fmac_f64_e32 v[108:109], v[16:17], v[152:153]
	;; [unrolled: 1-line block ×4, first 2 shown]
	v_add_f64 v[88:89], v[88:89], -v[106:107]
	v_fma_f64 v[106:107], v[144:145], v[10:11], 0
	v_add_f64 v[70:71], v[70:71], -v[108:109]
	v_fmac_f64_e32 v[106:107], v[12:13], v[36:37]
	v_div_scale_f64 v[108:109], s[0:1], v[96:97], v[96:97], v[70:71]
	v_fmac_f64_e32 v[106:107], v[78:79], v[94:95]
	v_rcp_f64_e32 v[112:113], v[108:109]
	v_add_f64 v[84:85], v[84:85], -v[106:107]
	v_fma_f64 v[106:107], v[144:145], v[2:3], 0
	v_fmac_f64_e32 v[106:107], v[12:13], v[20:21]
	v_fmac_f64_e32 v[106:107], v[78:79], v[86:87]
	v_add_f64 v[80:81], v[80:81], -v[106:107]
	v_fma_f64 v[106:107], -v[108:109], v[112:113], 1.0
	v_fmac_f64_e32 v[112:113], v[112:113], v[106:107]
	v_fma_f64 v[106:107], -v[108:109], v[112:113], 1.0
	v_fmac_f64_e32 v[112:113], v[112:113], v[106:107]
	v_div_scale_f64 v[106:107], vcc, v[70:71], v[96:97], v[70:71]
	v_mul_f64 v[130:131], v[106:107], v[112:113]
	v_fma_f64 v[106:107], -v[108:109], v[130:131], v[106:107]
	v_fma_f64 v[108:109], v[140:141], v[22:23], 0
	v_fmac_f64_e32 v[108:109], v[24:25], v[152:153]
	v_fmac_f64_e32 v[108:109], v[90:91], v[126:127]
	v_add_f64 v[72:73], v[72:73], -v[108:109]
	v_div_scale_f64 v[108:109], s[0:1], v[96:97], v[96:97], v[72:73]
	v_rcp_f64_e32 v[132:133], v[108:109]
	v_div_fmas_f64 v[106:107], v[106:107], v[112:113], v[130:131]
	v_div_fixup_f64 v[70:71], v[106:107], v[96:97], v[70:71]
	v_fma_f64 v[106:107], -v[108:109], v[132:133], 1.0
	v_fmac_f64_e32 v[132:133], v[132:133], v[106:107]
	v_fma_f64 v[106:107], -v[108:109], v[132:133], 1.0
	v_fmac_f64_e32 v[132:133], v[132:133], v[106:107]
	v_div_scale_f64 v[106:107], vcc, v[72:73], v[96:97], v[72:73]
	v_mul_f64 v[112:113], v[106:107], v[132:133]
	v_fma_f64 v[106:107], -v[108:109], v[112:113], v[106:107]
	v_fma_f64 v[108:109], v[134:135], v[22:23], 0
	v_fmac_f64_e32 v[108:109], v[28:29], v[152:153]
	v_fmac_f64_e32 v[108:109], v[98:99], v[126:127]
	v_add_f64 v[108:109], v[66:67], -v[108:109]
	v_div_scale_f64 v[130:131], s[0:1], v[96:97], v[96:97], v[108:109]
	v_rcp_f64_e32 v[158:159], v[130:131]
	v_div_fmas_f64 v[66:67], v[106:107], v[132:133], v[112:113]
	v_div_fixup_f64 v[66:67], v[66:67], v[96:97], v[72:73]
	v_fma_f64 v[112:113], v[136:137], v[22:23], 0
	v_fma_f64 v[72:73], -v[130:131], v[158:159], 1.0
	v_fmac_f64_e32 v[158:159], v[158:159], v[72:73]
	v_fma_f64 v[72:73], -v[130:131], v[158:159], 1.0
	v_fmac_f64_e32 v[112:113], v[118:119], v[152:153]
	v_fmac_f64_e32 v[158:159], v[158:159], v[72:73]
	v_div_scale_f64 v[72:73], vcc, v[108:109], v[96:97], v[108:109]
	v_fmac_f64_e32 v[112:113], v[100:101], v[126:127]
	v_mul_f64 v[106:107], v[72:73], v[158:159]
	v_add_f64 v[112:113], v[68:69], -v[112:113]
	v_fma_f64 v[72:73], -v[130:131], v[106:107], v[72:73]
	v_div_scale_f64 v[130:131], s[0:1], v[96:97], v[96:97], v[112:113]
	v_rcp_f64_e32 v[132:133], v[130:131]
	v_div_fmas_f64 v[68:69], v[72:73], v[158:159], v[106:107]
	v_div_fixup_f64 v[68:69], v[68:69], v[96:97], v[108:109]
	v_fma_f64 v[108:109], v[140:141], v[18:19], 0
	v_fma_f64 v[72:73], -v[130:131], v[132:133], 1.0
	v_fmac_f64_e32 v[132:133], v[132:133], v[72:73]
	v_fma_f64 v[72:73], -v[130:131], v[132:133], 1.0
	v_fmac_f64_e32 v[132:133], v[132:133], v[72:73]
	v_div_scale_f64 v[72:73], vcc, v[112:113], v[96:97], v[112:113]
	v_mul_f64 v[106:107], v[72:73], v[132:133]
	v_fma_f64 v[72:73], -v[130:131], v[106:107], v[72:73]
	v_fmac_f64_e32 v[108:109], v[24:25], v[150:151]
	s_nop 0
	v_div_fmas_f64 v[72:73], v[72:73], v[132:133], v[106:107]
	v_fma_f64 v[106:107], v[138:139], v[18:19], 0
	v_fmac_f64_e32 v[106:107], v[16:17], v[150:151]
	v_fmac_f64_e32 v[106:107], v[82:83], v[120:121]
	v_fmac_f64_e32 v[106:107], v[70:71], v[92:93]
	v_add_f64 v[106:107], v[62:63], -v[106:107]
	v_fma_f64 v[62:63], v[138:139], v[14:15], 0
	v_fmac_f64_e32 v[62:63], v[16:17], v[146:147]
	v_fmac_f64_e32 v[62:63], v[82:83], v[110:111]
	v_fmac_f64_e32 v[62:63], v[70:71], v[88:89]
	v_add_f64 v[62:63], v[54:55], -v[62:63]
	v_fma_f64 v[54:55], v[138:139], v[10:11], 0
	v_fmac_f64_e32 v[108:109], v[90:91], v[120:121]
	v_fmac_f64_e32 v[54:55], v[16:17], v[36:37]
	;; [unrolled: 1-line block ×4, first 2 shown]
	v_add_f64 v[64:65], v[64:65], -v[108:109]
	v_fmac_f64_e32 v[54:55], v[70:71], v[84:85]
	v_div_scale_f64 v[108:109], s[0:1], v[106:107], v[106:107], v[64:65]
	v_div_fixup_f64 v[72:73], v[72:73], v[96:97], v[112:113]
	v_add_f64 v[54:55], v[50:51], -v[54:55]
	v_fma_f64 v[50:51], v[138:139], v[2:3], 0
	v_rcp_f64_e32 v[112:113], v[108:109]
	v_fmac_f64_e32 v[50:51], v[16:17], v[20:21]
	v_fmac_f64_e32 v[50:51], v[82:83], v[86:87]
	;; [unrolled: 1-line block ×3, first 2 shown]
	v_add_f64 v[50:51], v[42:43], -v[50:51]
	v_fma_f64 v[42:43], -v[108:109], v[112:113], 1.0
	v_fmac_f64_e32 v[112:113], v[112:113], v[42:43]
	v_fma_f64 v[42:43], -v[108:109], v[112:113], 1.0
	v_fmac_f64_e32 v[112:113], v[112:113], v[42:43]
	v_div_scale_f64 v[42:43], vcc, v[64:65], v[106:107], v[64:65]
	v_mul_f64 v[130:131], v[42:43], v[112:113]
	v_fma_f64 v[42:43], -v[108:109], v[130:131], v[42:43]
	v_fma_f64 v[108:109], v[134:135], v[18:19], 0
	v_fmac_f64_e32 v[108:109], v[28:29], v[150:151]
	v_fmac_f64_e32 v[108:109], v[98:99], v[120:121]
	;; [unrolled: 1-line block ×3, first 2 shown]
	v_add_f64 v[58:59], v[58:59], -v[108:109]
	v_div_scale_f64 v[108:109], s[0:1], v[106:107], v[106:107], v[58:59]
	v_rcp_f64_e32 v[132:133], v[108:109]
	v_div_fmas_f64 v[42:43], v[42:43], v[112:113], v[130:131]
	v_div_fixup_f64 v[42:43], v[42:43], v[106:107], v[64:65]
	v_fma_f64 v[64:65], -v[108:109], v[132:133], 1.0
	v_fmac_f64_e32 v[132:133], v[132:133], v[64:65]
	v_fma_f64 v[64:65], -v[108:109], v[132:133], 1.0
	v_fmac_f64_e32 v[132:133], v[132:133], v[64:65]
	v_div_scale_f64 v[64:65], vcc, v[58:59], v[106:107], v[58:59]
	v_mul_f64 v[112:113], v[64:65], v[132:133]
	v_fma_f64 v[64:65], -v[108:109], v[112:113], v[64:65]
	v_fma_f64 v[108:109], v[136:137], v[18:19], 0
	v_fmac_f64_e32 v[108:109], v[118:119], v[150:151]
	v_fmac_f64_e32 v[108:109], v[100:101], v[120:121]
	v_fmac_f64_e32 v[108:109], v[72:73], v[92:93]
	v_add_f64 v[60:61], v[60:61], -v[108:109]
	v_div_scale_f64 v[108:109], s[0:1], v[106:107], v[106:107], v[60:61]
	v_rcp_f64_e32 v[130:131], v[108:109]
	v_div_fmas_f64 v[64:65], v[64:65], v[132:133], v[112:113]
	v_div_fixup_f64 v[58:59], v[64:65], v[106:107], v[58:59]
	v_fma_f64 v[64:65], -v[108:109], v[130:131], 1.0
	v_fmac_f64_e32 v[130:131], v[130:131], v[64:65]
	v_fma_f64 v[64:65], -v[108:109], v[130:131], 1.0
	v_fmac_f64_e32 v[130:131], v[130:131], v[64:65]
	v_div_scale_f64 v[64:65], vcc, v[60:61], v[106:107], v[60:61]
	v_mul_f64 v[112:113], v[64:65], v[130:131]
	v_fma_f64 v[64:65], -v[108:109], v[112:113], v[64:65]
	s_nop 1
	v_div_fmas_f64 v[64:65], v[64:65], v[130:131], v[112:113]
	v_div_fixup_f64 v[60:61], v[64:65], v[106:107], v[60:61]
	v_fma_f64 v[64:65], v[140:141], v[14:15], 0
	v_fmac_f64_e32 v[64:65], v[24:25], v[146:147]
	v_fmac_f64_e32 v[64:65], v[90:91], v[110:111]
	v_fmac_f64_e32 v[64:65], v[66:67], v[88:89]
	v_fmac_f64_e32 v[64:65], v[42:43], v[62:63]
	v_add_f64 v[56:57], v[56:57], -v[64:65]
	v_fma_f64 v[64:65], v[140:141], v[10:11], 0
	v_fmac_f64_e32 v[64:65], v[24:25], v[36:37]
	v_fmac_f64_e32 v[64:65], v[90:91], v[94:95]
	v_fmac_f64_e32 v[64:65], v[66:67], v[84:85]
	v_fmac_f64_e32 v[64:65], v[42:43], v[54:55]
	v_add_f64 v[52:53], v[52:53], -v[64:65]
	v_fma_f64 v[64:65], v[134:135], v[14:15], 0
	v_fmac_f64_e32 v[64:65], v[28:29], v[146:147]
	v_fmac_f64_e32 v[64:65], v[98:99], v[110:111]
	v_fmac_f64_e32 v[64:65], v[68:69], v[88:89]
	v_fmac_f64_e32 v[64:65], v[58:59], v[62:63]
	v_add_f64 v[46:47], v[46:47], -v[64:65]
	v_div_scale_f64 v[64:65], s[0:1], v[56:57], v[56:57], v[46:47]
	v_rcp_f64_e32 v[108:109], v[64:65]
	v_fma_f64 v[112:113], v[140:141], v[2:3], 0
	v_fmac_f64_e32 v[112:113], v[24:25], v[20:21]
	v_fmac_f64_e32 v[112:113], v[90:91], v[86:87]
	v_fma_f64 v[130:131], -v[64:65], v[108:109], 1.0
	v_fmac_f64_e32 v[108:109], v[108:109], v[130:131]
	v_fma_f64 v[130:131], -v[64:65], v[108:109], 1.0
	v_fmac_f64_e32 v[108:109], v[108:109], v[130:131]
	v_div_scale_f64 v[130:131], vcc, v[46:47], v[56:57], v[46:47]
	v_mul_f64 v[132:133], v[130:131], v[108:109]
	v_fma_f64 v[64:65], -v[64:65], v[132:133], v[130:131]
	v_fma_f64 v[130:131], v[136:137], v[14:15], 0
	v_fmac_f64_e32 v[130:131], v[118:119], v[146:147]
	v_fmac_f64_e32 v[130:131], v[100:101], v[110:111]
	;; [unrolled: 1-line block ×4, first 2 shown]
	v_add_f64 v[48:49], v[48:49], -v[130:131]
	v_div_scale_f64 v[130:131], s[0:1], v[56:57], v[56:57], v[48:49]
	v_rcp_f64_e32 v[158:159], v[130:131]
	v_div_fmas_f64 v[64:65], v[64:65], v[108:109], v[132:133]
	v_div_fixup_f64 v[46:47], v[64:65], v[56:57], v[46:47]
	v_fmac_f64_e32 v[112:113], v[66:67], v[80:81]
	v_fma_f64 v[64:65], -v[130:131], v[158:159], 1.0
	v_fmac_f64_e32 v[158:159], v[158:159], v[64:65]
	v_fma_f64 v[64:65], -v[130:131], v[158:159], 1.0
	v_fmac_f64_e32 v[158:159], v[158:159], v[64:65]
	v_div_scale_f64 v[64:65], vcc, v[48:49], v[56:57], v[48:49]
	v_mul_f64 v[108:109], v[64:65], v[158:159]
	v_fma_f64 v[64:65], -v[130:131], v[108:109], v[64:65]
	v_fmac_f64_e32 v[112:113], v[42:43], v[50:51]
	s_nop 0
	v_div_fmas_f64 v[64:65], v[64:65], v[158:159], v[108:109]
	v_div_fixup_f64 v[48:49], v[64:65], v[56:57], v[48:49]
	v_fma_f64 v[64:65], v[134:135], v[10:11], 0
	v_fmac_f64_e32 v[64:65], v[28:29], v[36:37]
	v_fmac_f64_e32 v[64:65], v[98:99], v[94:95]
	;; [unrolled: 1-line block ×5, first 2 shown]
	v_add_f64 v[38:39], v[38:39], -v[64:65]
	v_fma_f64 v[64:65], v[136:137], v[10:11], 0
	v_fmac_f64_e32 v[64:65], v[118:119], v[36:37]
	v_fmac_f64_e32 v[64:65], v[100:101], v[94:95]
	;; [unrolled: 1-line block ×5, first 2 shown]
	v_add_f64 v[64:65], v[40:41], -v[64:65]
	v_div_scale_f64 v[108:109], s[0:1], v[38:39], v[38:39], v[64:65]
	v_rcp_f64_e32 v[130:131], v[108:109]
	v_add_f64 v[40:41], v[44:45], -v[112:113]
	v_div_scale_f64 v[132:133], s[0:1], v[30:31], v[30:31], v[122:123]
	v_fma_f64 v[44:45], -v[108:109], v[130:131], 1.0
	v_fmac_f64_e32 v[130:131], v[130:131], v[44:45]
	v_rcp_f64_e32 v[158:159], v[132:133]
	v_fma_f64 v[44:45], -v[108:109], v[130:131], 1.0
	v_fmac_f64_e32 v[130:131], v[130:131], v[44:45]
	v_div_scale_f64 v[44:45], vcc, v[64:65], v[38:39], v[64:65]
	v_mul_f64 v[112:113], v[44:45], v[130:131]
	v_fma_f64 v[44:45], -v[108:109], v[112:113], v[44:45]
	v_fma_f64 v[108:109], -v[132:133], v[158:159], 1.0
	v_fmac_f64_e32 v[158:159], v[158:159], v[108:109]
	v_fma_f64 v[108:109], -v[132:133], v[158:159], 1.0
	v_div_fmas_f64 v[44:45], v[44:45], v[130:131], v[112:113]
	v_fmac_f64_e32 v[158:159], v[158:159], v[108:109]
	v_div_scale_f64 v[108:109], vcc, v[122:123], v[30:31], v[122:123]
	v_mul_f64 v[112:113], v[108:109], v[158:159]
	v_fma_f64 v[108:109], -v[132:133], v[112:113], v[108:109]
	v_div_fixup_f64 v[44:45], v[44:45], v[38:39], v[64:65]
	s_nop 0
	v_div_fmas_f64 v[108:109], v[108:109], v[158:159], v[112:113]
	v_div_fixup_f64 v[30:31], v[108:109], v[30:31], v[122:123]
	v_fma_f64 v[34:35], v[30:31], v[34:35], 0
	v_add_f64 v[34:35], v[124:125], -v[34:35]
	v_div_scale_f64 v[108:109], s[0:1], v[156:157], v[156:157], v[34:35]
	v_rcp_f64_e32 v[112:113], v[108:109]
	v_fma_f64 v[26:27], v[30:31], v[26:27], 0
	v_fma_f64 v[22:23], v[30:31], v[22:23], 0
	;; [unrolled: 1-line block ×3, first 2 shown]
	v_fma_f64 v[124:125], -v[108:109], v[112:113], 1.0
	v_fmac_f64_e32 v[112:113], v[112:113], v[124:125]
	v_fma_f64 v[124:125], -v[108:109], v[112:113], 1.0
	v_fmac_f64_e32 v[112:113], v[112:113], v[124:125]
	v_div_scale_f64 v[124:125], vcc, v[34:35], v[156:157], v[34:35]
	v_mul_f64 v[130:131], v[124:125], v[112:113]
	v_fma_f64 v[108:109], -v[108:109], v[130:131], v[124:125]
	v_fma_f64 v[14:15], v[30:31], v[14:15], 0
	s_nop 0
	v_div_fmas_f64 v[108:109], v[108:109], v[112:113], v[130:131]
	v_div_fixup_f64 v[34:35], v[108:109], v[156:157], v[34:35]
	v_fmac_f64_e32 v[26:27], v[34:35], v[154:155]
	v_add_f64 v[26:27], v[114:115], -v[26:27]
	v_div_scale_f64 v[108:109], s[0:1], v[128:129], v[128:129], v[26:27]
	v_rcp_f64_e32 v[112:113], v[108:109]
	v_fmac_f64_e32 v[22:23], v[34:35], v[152:153]
	v_fmac_f64_e32 v[18:19], v[34:35], v[150:151]
	;; [unrolled: 1-line block ×3, first 2 shown]
	v_fma_f64 v[114:115], -v[108:109], v[112:113], 1.0
	v_fmac_f64_e32 v[112:113], v[112:113], v[114:115]
	v_fma_f64 v[114:115], -v[108:109], v[112:113], 1.0
	v_fmac_f64_e32 v[112:113], v[112:113], v[114:115]
	v_div_scale_f64 v[114:115], vcc, v[26:27], v[128:129], v[26:27]
	v_mul_f64 v[124:125], v[114:115], v[112:113]
	v_fma_f64 v[108:109], -v[108:109], v[124:125], v[114:115]
	v_fma_f64 v[10:11], v[30:31], v[10:11], 0
	s_nop 0
	v_div_fmas_f64 v[108:109], v[108:109], v[112:113], v[124:125]
	v_div_fixup_f64 v[26:27], v[108:109], v[128:129], v[26:27]
	v_fmac_f64_e32 v[22:23], v[26:27], v[126:127]
	v_add_f64 v[22:23], v[116:117], -v[22:23]
	v_div_scale_f64 v[108:109], s[0:1], v[96:97], v[96:97], v[22:23]
	v_rcp_f64_e32 v[112:113], v[108:109]
	v_fmac_f64_e32 v[18:19], v[26:27], v[120:121]
	v_fmac_f64_e32 v[14:15], v[26:27], v[110:111]
	;; [unrolled: 1-line block ×3, first 2 shown]
	v_fma_f64 v[114:115], -v[108:109], v[112:113], 1.0
	v_fmac_f64_e32 v[112:113], v[112:113], v[114:115]
	v_fma_f64 v[114:115], -v[108:109], v[112:113], 1.0
	v_fmac_f64_e32 v[112:113], v[112:113], v[114:115]
	v_div_scale_f64 v[114:115], vcc, v[22:23], v[96:97], v[22:23]
	v_mul_f64 v[116:117], v[114:115], v[112:113]
	v_fma_f64 v[108:109], -v[108:109], v[116:117], v[114:115]
	v_fmac_f64_e32 v[10:11], v[26:27], v[94:95]
	s_nop 0
	v_div_fmas_f64 v[108:109], v[108:109], v[112:113], v[116:117]
	v_div_fixup_f64 v[22:23], v[108:109], v[96:97], v[22:23]
	v_fmac_f64_e32 v[18:19], v[22:23], v[92:93]
	v_add_f64 v[18:19], v[102:103], -v[18:19]
	v_div_scale_f64 v[92:93], s[0:1], v[106:107], v[106:107], v[18:19]
	v_rcp_f64_e32 v[96:97], v[92:93]
	v_fmac_f64_e32 v[14:15], v[22:23], v[88:89]
	v_fmac_f64_e32 v[10:11], v[22:23], v[84:85]
	v_fma_f64 v[122:123], v[134:135], v[2:3], 0
	v_fma_f64 v[102:103], -v[92:93], v[96:97], 1.0
	v_fmac_f64_e32 v[96:97], v[96:97], v[102:103]
	v_fma_f64 v[102:103], -v[92:93], v[96:97], 1.0
	v_fmac_f64_e32 v[96:97], v[96:97], v[102:103]
	v_div_scale_f64 v[102:103], vcc, v[18:19], v[106:107], v[18:19]
	v_mul_f64 v[108:109], v[102:103], v[96:97]
	v_fma_f64 v[92:93], -v[92:93], v[108:109], v[102:103]
	v_fmac_f64_e32 v[122:123], v[28:29], v[20:21]
	s_nop 0
	v_div_fmas_f64 v[92:93], v[92:93], v[96:97], v[108:109]
	v_div_fixup_f64 v[18:19], v[92:93], v[106:107], v[18:19]
	v_fmac_f64_e32 v[14:15], v[18:19], v[62:63]
	v_add_f64 v[14:15], v[104:105], -v[14:15]
	v_div_scale_f64 v[62:63], s[0:1], v[56:57], v[56:57], v[14:15]
	v_rcp_f64_e32 v[88:89], v[62:63]
	v_fmac_f64_e32 v[10:11], v[18:19], v[54:55]
	v_fma_f64 v[64:65], v[136:137], v[2:3], 0
	v_fma_f64 v[2:3], v[30:31], v[2:3], 0
	v_fma_f64 v[92:93], -v[62:63], v[88:89], 1.0
	v_fmac_f64_e32 v[88:89], v[88:89], v[92:93]
	v_fma_f64 v[92:93], -v[62:63], v[88:89], 1.0
	v_fmac_f64_e32 v[88:89], v[88:89], v[92:93]
	v_div_scale_f64 v[92:93], vcc, v[14:15], v[56:57], v[14:15]
	v_mul_f64 v[96:97], v[92:93], v[88:89]
	v_fma_f64 v[62:63], -v[62:63], v[96:97], v[92:93]
	v_fmac_f64_e32 v[122:123], v[98:99], v[86:87]
	s_nop 0
	v_div_fmas_f64 v[62:63], v[62:63], v[88:89], v[96:97]
	v_div_fixup_f64 v[14:15], v[62:63], v[56:57], v[14:15]
	v_fmac_f64_e32 v[10:11], v[14:15], v[52:53]
	v_add_f64 v[10:11], v[74:75], -v[10:11]
	v_div_scale_f64 v[36:37], s[0:1], v[38:39], v[38:39], v[10:11]
	v_rcp_f64_e32 v[52:53], v[36:37]
	v_fmac_f64_e32 v[64:65], v[118:119], v[20:21]
	v_fmac_f64_e32 v[2:3], v[34:35], v[20:21]
	;; [unrolled: 1-line block ×3, first 2 shown]
	v_fma_f64 v[56:57], -v[36:37], v[52:53], 1.0
	v_fmac_f64_e32 v[52:53], v[52:53], v[56:57]
	v_fma_f64 v[56:57], -v[36:37], v[52:53], 1.0
	v_fmac_f64_e32 v[52:53], v[52:53], v[56:57]
	v_div_scale_f64 v[56:57], vcc, v[10:11], v[38:39], v[10:11]
	v_fmac_f64_e32 v[64:65], v[100:101], v[86:87]
	v_mul_f64 v[62:63], v[56:57], v[52:53]
	v_fmac_f64_e32 v[2:3], v[26:27], v[86:87]
	v_fmac_f64_e32 v[122:123], v[58:59], v[50:51]
	;; [unrolled: 1-line block ×3, first 2 shown]
	v_fma_f64 v[36:37], -v[36:37], v[62:63], v[56:57]
	v_fmac_f64_e32 v[2:3], v[22:23], v[80:81]
	v_fmac_f64_e32 v[122:123], v[46:47], v[40:41]
	;; [unrolled: 1-line block ×3, first 2 shown]
	v_div_fmas_f64 v[36:37], v[36:37], v[52:53], v[62:63]
	v_fmac_f64_e32 v[2:3], v[18:19], v[50:51]
	v_add_f64 v[6:7], v[6:7], -v[122:123]
	v_fmac_f64_e32 v[64:65], v[48:49], v[40:41]
	v_div_fixup_f64 v[10:11], v[36:37], v[38:39], v[10:11]
	v_fmac_f64_e32 v[2:3], v[14:15], v[40:41]
	v_fmac_f64_e32 v[64:65], v[44:45], v[6:7]
	;; [unrolled: 1-line block ×3, first 2 shown]
	v_add_f64 v[8:9], v[8:9], -v[64:65]
	v_add_f64 v[2:3], v[76:77], -v[2:3]
	v_div_scale_f64 v[6:7], s[2:3], v[8:9], v[8:9], v[2:3]
	v_rcp_f64_e32 v[20:21], v[6:7]
	v_add_co_u32_e64 v54, s[0:1], s95, v232
	v_mov_b32_e32 v36, s33
	v_addc_co_u32_e64 v55, vcc, v36, v233, s[0:1]
	v_fma_f64 v[36:37], -v[6:7], v[20:21], 1.0
	v_fmac_f64_e32 v[20:21], v[20:21], v[36:37]
	v_fma_f64 v[36:37], -v[6:7], v[20:21], 1.0
	v_fmac_f64_e32 v[20:21], v[20:21], v[36:37]
	v_div_scale_f64 v[36:37], vcc, v[2:3], v[8:9], v[2:3]
	v_mul_f64 v[38:39], v[36:37], v[20:21]
	v_fma_f64 v[6:7], -v[6:7], v[38:39], v[36:37]
	s_nop 1
	v_div_fmas_f64 v[6:7], v[6:7], v[20:21], v[38:39]
	v_div_fixup_f64 v[8:9], v[6:7], v[8:9], v[2:3]
	v_fma_f64 v[2:3], v[44:45], v[8:9], 0
	v_add_f64 v[6:7], v[10:11], -v[2:3]
	v_fma_f64 v[2:3], v[46:47], v[6:7], 0
	v_fmac_f64_e32 v[2:3], v[48:49], v[8:9]
	v_add_f64 v[20:21], v[14:15], -v[2:3]
	v_fma_f64 v[2:3], v[42:43], v[20:21], 0
	v_fmac_f64_e32 v[2:3], v[58:59], v[6:7]
	v_fmac_f64_e32 v[2:3], v[60:61], v[8:9]
	v_add_f64 v[18:19], v[18:19], -v[2:3]
	v_fma_f64 v[2:3], v[70:71], v[18:19], 0
	v_fmac_f64_e32 v[2:3], v[66:67], v[20:21]
	v_fmac_f64_e32 v[2:3], v[68:69], v[6:7]
	v_fmac_f64_e32 v[2:3], v[72:73], v[8:9]
	v_add_f64 v[38:39], v[22:23], -v[2:3]
	v_fma_f64 v[2:3], v[78:79], v[38:39], 0
	v_fmac_f64_e32 v[2:3], v[82:83], v[18:19]
	v_fmac_f64_e32 v[2:3], v[90:91], v[20:21]
	;; [unrolled: 1-line block ×4, first 2 shown]
	v_add_f64 v[36:37], v[26:27], -v[2:3]
	v_fma_f64 v[2:3], v[4:5], v[36:37], 0
	v_fmac_f64_e32 v[2:3], v[12:13], v[38:39]
	v_fmac_f64_e32 v[2:3], v[16:17], v[18:19]
	;; [unrolled: 1-line block ×5, first 2 shown]
	v_add_f64 v[4:5], v[34:35], -v[2:3]
	v_fma_f64 v[2:3], v[32:33], v[4:5], 0
	v_fmac_f64_e32 v[2:3], v[142:143], v[36:37]
	v_fmac_f64_e32 v[2:3], v[144:145], v[38:39]
	;; [unrolled: 1-line block ×4, first 2 shown]
	v_add_co_u32_e32 v230, vcc, 64, v230
	v_fmac_f64_e32 v[2:3], v[134:135], v[6:7]
	v_addc_co_u32_e32 v231, vcc, 0, v231, vcc
	v_fmac_f64_e32 v[2:3], v[136:137], v[8:9]
	v_add_co_u32_e32 v228, vcc, 0x200, v228
	v_cmp_le_i64_e64 s[0:1], s[76:77], v[230:231]
	v_add_f64 v[2:3], v[30:31], -v[2:3]
	s_or_b64 s[84:85], s[0:1], s[84:85]
	v_addc_co_u32_e32 v229, vcc, 0, v229, vcc
	global_store_dwordx4 v[54:55], v[6:9], off offset:48
	global_store_dwordx4 v[54:55], v[18:21], off offset:32
	;; [unrolled: 1-line block ×3, first 2 shown]
	global_store_dwordx4 v[54:55], v[2:5], off
	s_andn2_b64 exec, exec, s[84:85]
	s_cbranch_execz .LBB1_7
.LBB1_11:                               ;   Parent Loop BB1_8 Depth=1
                                        ; =>  This Inner Loop Header: Depth=2
	global_load_dwordx2 v[170:171], v[228:229], off
	v_mov_b32_e32 v5, s90
	v_mov_b32_e32 v7, s92
	;; [unrolled: 1-line block ×3, first 2 shown]
	s_waitcnt vmcnt(0)
	v_mad_u64_u32 v[174:175], s[0:1], v170, 48, s[66:67]
	v_mul_lo_u32 v4, v171, 48
	v_add_u32_e32 v175, v4, v175
	global_load_dwordx2 v[2:3], v[174:175], off
	v_mad_u64_u32 v[176:177], s[0:1], v170, 48, s[70:71]
	v_lshlrev_b64 v[232:233], 6, v[170:171]
	v_add_u32_e32 v177, v4, v177
	v_add_co_u32_e32 v4, vcc, s89, v232
	v_lshlrev_b64 v[172:173], 9, v[170:171]
	v_addc_co_u32_e32 v5, vcc, v5, v233, vcc
	v_add_co_u32_e32 v146, vcc, s91, v172
	v_addc_co_u32_e32 v147, vcc, v7, v173, vcc
	global_load_dwordx2 v[148:149], v[176:177], off
	global_load_dwordx4 v[74:77], v[4:5], off offset:48
	global_load_dwordx4 v[102:105], v[4:5], off offset:32
	;; [unrolled: 1-line block ×3, first 2 shown]
	global_load_dwordx4 v[122:125], v[4:5], off
	global_load_dwordx4 v[134:137], v[146:147], off offset:48
	global_load_dwordx4 v[138:141], v[146:147], off offset:32
	global_load_dwordx4 v[142:145], v[146:147], off offset:16
	global_load_dwordx4 v[30:33], v[146:147], off
	global_load_dwordx4 v[118:121], v[146:147], off offset:112
	global_load_dwordx4 v[126:129], v[146:147], off offset:96
	;; [unrolled: 1-line block ×6, first 2 shown]
                                        ; kill: killed $vgpr4 killed $vgpr5
	global_load_dwordx4 v[110:113], v[146:147], off offset:144
	global_load_dwordx4 v[26:29], v[146:147], off offset:128
	;; [unrolled: 1-line block ×18, first 2 shown]
	s_waitcnt vmcnt(33)
	v_lshlrev_b64 v[2:3], 3, v[2:3]
	v_add_co_u32_e32 v2, vcc, s64, v2
	v_addc_co_u32_e32 v3, vcc, v6, v3, vcc
	global_load_dwordx2 v[154:155], v[2:3], off
	global_load_dwordx4 v[6:9], v[146:147], off offset:496
	global_load_dwordx4 v[42:45], v[146:147], off offset:480
	;; [unrolled: 1-line block ×3, first 2 shown]
	s_nop 0
	global_load_dwordx4 v[2:5], v[146:147], off offset:448
	s_waitcnt vmcnt(37)
	v_cmp_ne_u64_e32 vcc, 0, v[148:149]
	s_waitcnt vmcnt(4)
	v_cmp_lt_i64_e64 s[0:1], -1, v[154:155]
	s_and_b64 s[0:1], s[0:1], vcc
	s_and_saveexec_b64 s[86:87], s[0:1]
	s_cbranch_execz .LBB1_13
; %bb.12:                               ;   in Loop: Header=BB1_11 Depth=2
	v_lshlrev_b64 v[146:147], 5, v[154:155]
	v_mov_b32_e32 v149, s69
	v_add_co_u32_e32 v148, vcc, s68, v146
	v_addc_co_u32_e32 v149, vcc, v149, v147, vcc
	global_load_dwordx2 v[148:149], v[148:149], off
	v_mov_b32_e32 v152, s72
	v_mov_b32_e32 v153, s68
	;; [unrolled: 1-line block ×4, first 2 shown]
	v_lshlrev_b64 v[154:155], 8, v[154:155]
	v_mov_b32_e32 v202, s80
	v_mov_b32_e32 v203, s80
	;; [unrolled: 1-line block ×4, first 2 shown]
	s_waitcnt vmcnt(0)
	v_ashrrev_i32_e32 v156, 31, v149
	v_lshrrev_b32_e32 v156, 29, v156
	v_add_co_u32_e32 v148, vcc, v148, v156
	v_addc_co_u32_e32 v149, vcc, 0, v149, vcc
	v_ashrrev_i64 v[148:149], 3, v[148:149]
	v_cmp_eq_u64_e32 vcc, v[170:171], v[148:149]
	v_cndmask_b32_e32 v148, v153, v152, vcc
	v_cndmask_b32_e32 v149, v151, v150, vcc
	v_add_co_u32_e64 v148, s[0:1], v148, v146
	v_addc_co_u32_e64 v149, s[0:1], v149, v147, s[0:1]
	global_load_dwordx4 v[178:181], v[148:149], off
	global_load_dwordx4 v[182:185], v[148:149], off offset:16
	v_cndmask_b32_e32 v156, v150, v151, vcc
	v_cndmask_b32_e32 v150, v152, v153, vcc
	v_add_co_u32_e64 v146, s[2:3], v150, v146
	v_addc_co_u32_e64 v147, s[0:1], v156, v147, s[2:3]
	global_load_dwordx4 v[150:153], v[146:147], off
	s_nop 0
	global_load_dwordx4 v[146:149], v[146:147], off offset:16
	v_cndmask_b32_e64 v157, 0, 1, vcc
	v_lshlrev_b32_e32 v157, 7, v157
	v_mov_b32_e32 v156, s78
	v_add_co_u32_e32 v157, vcc, s81, v157
	v_addc_co_u32_e32 v156, vcc, 0, v156, vcc
	v_add_co_u32_e32 v198, vcc, v157, v154
	v_addc_co_u32_e32 v199, vcc, v156, v155, vcc
	global_load_dwordx4 v[166:169], v[198:199], off
	global_load_dwordx4 v[162:165], v[198:199], off offset:16
	global_load_dwordx4 v[158:161], v[198:199], off offset:32
	;; [unrolled: 1-line block ×6, first 2 shown]
	s_nop 0
	global_load_dwordx4 v[198:201], v[198:199], off offset:112
	s_waitcnt vmcnt(11)
	v_lshlrev_b64 v[178:179], 3, v[178:179]
	v_lshlrev_b64 v[180:181], 3, v[180:181]
	v_add_co_u32_e32 v178, vcc, s88, v178
	s_waitcnt vmcnt(10)
	v_lshlrev_b64 v[182:183], 3, v[182:183]
	v_add_co_u32_e64 v180, s[0:1], s88, v180
	v_addc_co_u32_e32 v179, vcc, v202, v179, vcc
	v_lshlrev_b64 v[184:185], 3, v[184:185]
	v_add_co_u32_e64 v182, s[2:3], s88, v182
	v_addc_co_u32_e64 v181, vcc, v203, v181, s[0:1]
	global_load_dwordx2 v[178:179], v[178:179], off
	v_add_co_u32_e64 v184, s[4:5], s88, v184
	global_load_dwordx2 v[180:181], v[180:181], off
	v_addc_co_u32_e64 v183, vcc, v204, v183, s[2:3]
	global_load_dwordx2 v[182:183], v[182:183], off
	v_addc_co_u32_e64 v185, vcc, v205, v185, s[4:5]
	global_load_dwordx2 v[184:185], v[184:185], off
	s_waitcnt vmcnt(13)
	v_ashrrev_i32_e32 v151, 31, v151
	s_waitcnt vmcnt(12)
	v_ashrrev_i32_e32 v147, 31, v147
	v_lshrrev_b32_e32 v151, 29, v151
	v_lshrrev_b32_e32 v147, 29, v147
	v_add_u32_e32 v151, v150, v151
	v_add_u32_e32 v147, v146, v147
	v_and_b32_e32 v151, -8, v151
	v_and_b32_e32 v147, -8, v147
	v_sub_u32_e32 v150, v150, v151
	v_sub_u32_e32 v146, v146, v147
	v_cmp_eq_u32_e32 vcc, 1, v150
	v_cmp_eq_u32_e64 s[0:1], 2, v150
	v_cmp_eq_u32_e64 s[18:19], 1, v146
	;; [unrolled: 1-line block ×9, first 2 shown]
	v_cndmask_b32_e32 v146, v123, v125, vcc
	v_cndmask_b32_e32 v147, v122, v124, vcc
	v_ashrrev_i32_e32 v149, 31, v149
	v_cmp_eq_u32_e64 s[2:3], 3, v150
	v_cndmask_b32_e64 v146, v146, v115, s[0:1]
	v_cndmask_b32_e64 v147, v147, v114, s[0:1]
	v_lshrrev_b32_e32 v149, 29, v149
	v_cmp_eq_u32_e64 s[4:5], 4, v150
	v_cndmask_b32_e64 v146, v146, v117, s[2:3]
	v_cndmask_b32_e64 v147, v147, v116, s[2:3]
	v_add_u32_e32 v149, v148, v149
	v_cmp_eq_u32_e64 s[6:7], 5, v150
	v_cndmask_b32_e64 v146, v146, v103, s[4:5]
	v_cndmask_b32_e64 v147, v147, v102, s[4:5]
	v_and_b32_e32 v149, -8, v149
	v_cmp_eq_u32_e64 s[8:9], 6, v150
	v_cndmask_b32_e64 v146, v146, v105, s[6:7]
	v_cndmask_b32_e64 v147, v147, v104, s[6:7]
	s_waitcnt vmcnt(11)
	v_mul_f64 v[166:167], v[226:227], v[166:167]
	v_sub_u32_e32 v202, v148, v149
	v_cmp_eq_u32_e64 s[10:11], 7, v150
	v_cndmask_b32_e64 v146, v146, v75, s[8:9]
	v_cndmask_b32_e64 v148, v147, v74, s[8:9]
	v_ashrrev_i32_e32 v153, 31, v153
	v_mul_f64 v[168:169], v[226:227], v[168:169]
	v_cndmask_b32_e64 v147, v146, v77, s[10:11]
	v_cndmask_b32_e64 v146, v148, v76, s[10:11]
	v_lshrrev_b32_e32 v153, 29, v153
	s_waitcnt vmcnt(10)
	v_mul_f64 v[162:163], v[226:227], v[162:163]
	v_mul_f64 v[164:165], v[226:227], v[164:165]
	v_add_u32_e32 v153, v152, v153
	v_and_b32_e32 v153, -8, v153
	v_sub_u32_e32 v151, v152, v153
	v_cmp_eq_u32_e64 s[30:31], 0, v150
	v_cmp_eq_u32_e64 s[12:13], 1, v151
	;; [unrolled: 1-line block ×4, first 2 shown]
	s_waitcnt vmcnt(9)
	v_mul_f64 v[158:159], v[226:227], v[158:159]
	v_cmp_eq_u32_e64 s[20:21], 4, v151
	v_mul_f64 v[160:161], v[226:227], v[160:161]
	v_cmp_eq_u32_e64 s[26:27], 5, v151
	v_cmp_eq_u32_e64 s[34:35], 6, v151
	v_cmp_eq_u32_e64 s[38:39], 7, v151
	v_cmp_eq_u32_e64 s[42:43], 0, v151
	s_waitcnt vmcnt(8)
	v_mul_f64 v[154:155], v[226:227], v[154:155]
	v_mul_f64 v[156:157], v[226:227], v[156:157]
	s_waitcnt vmcnt(7)
	v_mul_f64 v[186:187], v[226:227], v[186:187]
	v_mul_f64 v[188:189], v[226:227], v[188:189]
	s_waitcnt vmcnt(6)
	v_mul_f64 v[190:191], v[226:227], v[190:191]
	v_mul_f64 v[192:193], v[226:227], v[192:193]
	s_waitcnt vmcnt(3)
	v_fma_f64 v[148:149], v[166:167], v[178:179], 0
	v_fma_f64 v[150:151], v[178:179], v[158:159], 0
	;; [unrolled: 1-line block ×3, first 2 shown]
	s_waitcnt vmcnt(2)
	v_fmac_f64_e32 v[148:149], v[168:169], v[180:181]
	v_fmac_f64_e32 v[150:151], v[180:181], v[160:161]
	;; [unrolled: 1-line block ×3, first 2 shown]
	s_waitcnt vmcnt(1)
	v_fmac_f64_e32 v[148:149], v[162:163], v[182:183]
	v_fmac_f64_e32 v[150:151], v[182:183], v[154:155]
	;; [unrolled: 1-line block ×3, first 2 shown]
	s_waitcnt vmcnt(0)
	v_fmac_f64_e32 v[148:149], v[164:165], v[184:185]
	v_add_f64 v[146:147], v[146:147], -v[148:149]
	v_cndmask_b32_e32 v124, v124, v146, vcc
	v_cndmask_b32_e64 v122, v122, v146, s[30:31]
	v_cndmask_b32_e32 v125, v125, v147, vcc
	v_cndmask_b32_e64 v123, v123, v147, s[30:31]
	v_cndmask_b32_e64 v76, v76, v146, s[10:11]
	;; [unrolled: 1-line block ×25, first 2 shown]
	v_fmac_f64_e32 v[150:151], v[184:185], v[156:157]
	v_cndmask_b32_e64 v75, v74, v77, s[38:39]
	v_cndmask_b32_e64 v74, v147, v76, s[38:39]
	v_add_f64 v[74:75], v[74:75], -v[150:151]
	v_cndmask_b32_e64 v124, v124, v74, s[12:13]
	v_cndmask_b32_e64 v122, v122, v74, s[42:43]
	;; [unrolled: 1-line block ×28, first 2 shown]
	v_fmac_f64_e32 v[152:153], v[184:185], v[192:193]
	v_cndmask_b32_e64 v75, v74, v77, s[46:47]
	v_cndmask_b32_e64 v74, v148, v76, s[46:47]
	v_add_f64 v[74:75], v[74:75], -v[152:153]
	v_cmp_eq_u32_e64 s[24:25], 1, v202
	v_cndmask_b32_e64 v124, v124, v74, s[18:19]
	v_cndmask_b32_e64 v148, v122, v74, s[50:51]
	;; [unrolled: 1-line block ×4, first 2 shown]
	v_cmp_eq_u32_e64 s[48:49], 2, v202
	v_cndmask_b32_e64 v76, v76, v74, s[46:47]
	v_cndmask_b32_e64 v147, v147, v74, s[44:45]
	v_cndmask_b32_e64 v104, v104, v74, s[40:41]
	v_cndmask_b32_e64 v102, v102, v74, s[36:37]
	v_cndmask_b32_e64 v116, v116, v74, s[28:29]
	v_cndmask_b32_e64 v114, v114, v74, s[22:23]
	v_cndmask_b32_e64 v77, v77, v75, s[46:47]
	v_cndmask_b32_e64 v146, v146, v75, s[44:45]
	v_cndmask_b32_e64 v105, v105, v75, s[40:41]
	v_cndmask_b32_e64 v103, v103, v75, s[36:37]
	v_cndmask_b32_e64 v117, v117, v75, s[28:29]
	v_cndmask_b32_e64 v115, v115, v75, s[22:23]
	v_cndmask_b32_e64 v74, v149, v125, s[24:25]
	v_cndmask_b32_e64 v75, v148, v124, s[24:25]
	v_cmp_eq_u32_e64 s[52:53], 3, v202
	v_cndmask_b32_e64 v74, v74, v115, s[48:49]
	v_cndmask_b32_e64 v75, v75, v114, s[48:49]
	v_mul_f64 v[194:195], v[226:227], v[194:195]
	v_cmp_eq_u32_e64 s[54:55], 4, v202
	v_cndmask_b32_e64 v74, v74, v117, s[52:53]
	v_cndmask_b32_e64 v75, v75, v116, s[52:53]
	v_mul_f64 v[196:197], v[226:227], v[196:197]
	v_cmp_eq_u32_e64 s[56:57], 5, v202
	v_fma_f64 v[158:159], v[178:179], v[194:195], 0
	v_cndmask_b32_e64 v74, v74, v103, s[54:55]
	v_cndmask_b32_e64 v75, v75, v102, s[54:55]
	v_mul_f64 v[198:199], v[226:227], v[198:199]
	v_cmp_eq_u32_e64 s[58:59], 6, v202
	v_fmac_f64_e32 v[158:159], v[180:181], v[196:197]
	v_cndmask_b32_e64 v74, v74, v105, s[56:57]
	v_cndmask_b32_e64 v75, v75, v104, s[56:57]
	v_mul_f64 v[200:201], v[226:227], v[200:201]
	v_cmp_eq_u32_e64 s[60:61], 7, v202
	v_fmac_f64_e32 v[158:159], v[182:183], v[198:199]
	v_cndmask_b32_e64 v74, v74, v146, s[58:59]
	v_cndmask_b32_e64 v122, v75, v147, s[58:59]
	v_fmac_f64_e32 v[158:159], v[184:185], v[200:201]
	v_cndmask_b32_e64 v75, v74, v77, s[60:61]
	v_cndmask_b32_e64 v74, v122, v76, s[60:61]
	v_add_f64 v[122:123], v[74:75], -v[158:159]
	v_cmp_eq_u32_e32 vcc, 0, v202
	v_cndmask_b32_e64 v77, v77, v123, s[60:61]
	v_cndmask_b32_e64 v76, v76, v122, s[60:61]
	;; [unrolled: 1-line block ×14, first 2 shown]
	v_cndmask_b32_e32 v123, v149, v123, vcc
	v_cndmask_b32_e32 v122, v148, v122, vcc
.LBB1_13:                               ;   in Loop: Header=BB1_11 Depth=2
	s_or_b64 exec, exec, s[86:87]
	global_load_dwordx2 v[146:147], v[174:175], off offset:8
	v_mov_b32_e32 v148, s65
	s_waitcnt vmcnt(0)
	v_lshlrev_b64 v[146:147], 3, v[146:147]
	v_add_co_u32_e32 v146, vcc, s64, v146
	v_addc_co_u32_e32 v147, vcc, v148, v147, vcc
	global_load_dwordx2 v[148:149], v[176:177], off offset:8
	s_nop 0
	global_load_dwordx2 v[146:147], v[146:147], off
	s_waitcnt vmcnt(1)
	v_cmp_ne_u64_e32 vcc, 0, v[148:149]
	s_waitcnt vmcnt(0)
	v_cmp_lt_i64_e64 s[0:1], -1, v[146:147]
	s_and_b64 s[0:1], s[0:1], vcc
	s_and_saveexec_b64 s[14:15], s[0:1]
	s_cbranch_execz .LBB1_15
; %bb.14:                               ;   in Loop: Header=BB1_11 Depth=2
	v_lshlrev_b64 v[148:149], 5, v[146:147]
	v_mov_b32_e32 v151, s69
	v_add_co_u32_e32 v150, vcc, s68, v148
	v_addc_co_u32_e32 v151, vcc, v151, v149, vcc
	global_load_dwordx2 v[150:151], v[150:151], off
	v_mov_b32_e32 v156, s72
	v_mov_b32_e32 v157, s68
	;; [unrolled: 1-line block ×9, first 2 shown]
	s_waitcnt vmcnt(0)
	v_ashrrev_i32_e32 v154, 31, v151
	v_lshrrev_b32_e32 v154, 29, v154
	v_add_co_u32_e32 v150, vcc, v150, v154
	v_addc_co_u32_e32 v151, vcc, 0, v151, vcc
	v_ashrrev_i64 v[150:151], 3, v[150:151]
	v_cmp_eq_u64_e32 vcc, v[170:171], v[150:151]
	v_cndmask_b32_e32 v150, v157, v156, vcc
	v_cndmask_b32_e32 v151, v153, v152, vcc
	v_add_co_u32_e64 v150, s[0:1], v150, v148
	v_addc_co_u32_e64 v151, s[0:1], v151, v149, s[0:1]
	global_load_dwordx4 v[178:181], v[150:151], off
	global_load_dwordx4 v[182:185], v[150:151], off offset:16
	v_lshlrev_b64 v[154:155], 8, v[146:147]
	v_cndmask_b32_e32 v146, v156, v157, vcc
	v_cndmask_b32_e32 v158, v152, v153, vcc
	v_cndmask_b32_e64 v147, 0, 1, vcc
	v_add_co_u32_e32 v150, vcc, v146, v148
	v_addc_co_u32_e32 v151, vcc, v158, v149, vcc
	v_lshlrev_b32_e32 v156, 7, v147
	global_load_dwordx4 v[146:149], v[150:151], off offset:16
	s_nop 0
	global_load_dwordx4 v[150:153], v[150:151], off
	v_add_co_u32_e32 v156, vcc, s81, v156
	v_addc_co_u32_e32 v157, vcc, 0, v159, vcc
	v_add_co_u32_e32 v198, vcc, v156, v154
	v_addc_co_u32_e32 v199, vcc, v157, v155, vcc
	global_load_dwordx4 v[166:169], v[198:199], off
	global_load_dwordx4 v[162:165], v[198:199], off offset:16
	global_load_dwordx4 v[158:161], v[198:199], off offset:32
	;; [unrolled: 1-line block ×6, first 2 shown]
	s_nop 0
	global_load_dwordx4 v[198:201], v[198:199], off offset:112
	s_waitcnt vmcnt(11)
	v_lshlrev_b64 v[178:179], 3, v[178:179]
	v_add_co_u32_e32 v178, vcc, s88, v178
	v_lshlrev_b64 v[180:181], 3, v[180:181]
	v_addc_co_u32_e32 v179, vcc, v202, v179, vcc
	v_add_co_u32_e32 v180, vcc, s88, v180
	s_waitcnt vmcnt(10)
	v_lshlrev_b64 v[182:183], 3, v[182:183]
	v_addc_co_u32_e32 v181, vcc, v203, v181, vcc
	v_add_co_u32_e32 v182, vcc, s88, v182
	v_lshlrev_b64 v[184:185], 3, v[184:185]
	global_load_dwordx2 v[178:179], v[178:179], off
	v_addc_co_u32_e32 v183, vcc, v204, v183, vcc
	global_load_dwordx2 v[180:181], v[180:181], off
	v_add_co_u32_e32 v184, vcc, s88, v184
	global_load_dwordx2 v[182:183], v[182:183], off
	v_addc_co_u32_e32 v185, vcc, v205, v185, vcc
	global_load_dwordx2 v[184:185], v[184:185], off
	s_waitcnt vmcnt(12)
	v_ashrrev_i32_e32 v151, 31, v151
	v_lshrrev_b32_e32 v151, 29, v151
	v_ashrrev_i32_e32 v147, 31, v147
	v_add_u32_e32 v151, v150, v151
	v_lshrrev_b32_e32 v147, 29, v147
	v_and_b32_e32 v151, -8, v151
	v_add_u32_e32 v147, v146, v147
	v_sub_u32_e32 v202, v150, v151
	v_and_b32_e32 v147, -8, v147
	v_cmp_eq_u32_e32 vcc, 1, v202
	v_sub_u32_e32 v204, v146, v147
	v_cndmask_b32_e32 v146, v123, v125, vcc
	v_cmp_eq_u32_e64 s[0:1], 2, v202
	v_ashrrev_i32_e32 v149, 31, v149
	v_cndmask_b32_e64 v146, v146, v115, s[0:1]
	v_cndmask_b32_e32 v147, v122, v124, vcc
	v_cmp_eq_u32_e64 s[2:3], 3, v202
	v_lshrrev_b32_e32 v149, 29, v149
	v_cndmask_b32_e64 v146, v146, v117, s[2:3]
	v_cndmask_b32_e64 v147, v147, v114, s[0:1]
	v_cmp_eq_u32_e64 s[4:5], 4, v202
	v_add_u32_e32 v149, v148, v149
	v_cndmask_b32_e64 v146, v146, v103, s[4:5]
	v_cndmask_b32_e64 v147, v147, v116, s[2:3]
	v_cmp_eq_u32_e64 s[6:7], 5, v202
	v_and_b32_e32 v149, -8, v149
	v_cndmask_b32_e64 v146, v146, v105, s[6:7]
	v_cndmask_b32_e64 v147, v147, v102, s[4:5]
	v_cmp_eq_u32_e64 s[8:9], 6, v202
	s_waitcnt vmcnt(11)
	v_mul_f64 v[166:167], v[226:227], v[166:167]
	v_sub_u32_e32 v205, v148, v149
	v_cndmask_b32_e64 v146, v146, v75, s[8:9]
	v_cndmask_b32_e64 v148, v147, v104, s[6:7]
	v_cmp_eq_u32_e64 s[10:11], 7, v202
	v_ashrrev_i32_e32 v153, 31, v153
	v_mul_f64 v[168:169], v[226:227], v[168:169]
	v_cndmask_b32_e64 v147, v146, v77, s[10:11]
	v_cndmask_b32_e64 v146, v148, v74, s[8:9]
	v_lshrrev_b32_e32 v153, 29, v153
	s_waitcnt vmcnt(10)
	v_mul_f64 v[162:163], v[226:227], v[162:163]
	v_mul_f64 v[164:165], v[226:227], v[164:165]
	v_add_u32_e32 v153, v152, v153
	v_and_b32_e32 v153, -8, v153
	v_cndmask_b32_e64 v146, v146, v76, s[10:11]
	v_sub_u32_e32 v203, v152, v153
	v_cmp_eq_u32_e64 s[12:13], 0, v202
	s_waitcnt vmcnt(9)
	v_mul_f64 v[158:159], v[226:227], v[158:159]
	v_mul_f64 v[160:161], v[226:227], v[160:161]
	s_waitcnt vmcnt(8)
	v_mul_f64 v[154:155], v[226:227], v[154:155]
	v_mul_f64 v[156:157], v[226:227], v[156:157]
	;; [unrolled: 3-line block ×6, first 2 shown]
	s_waitcnt vmcnt(3)
	v_fma_f64 v[148:149], v[166:167], v[178:179], 0
	v_fma_f64 v[150:151], v[178:179], v[158:159], 0
	;; [unrolled: 1-line block ×3, first 2 shown]
	s_waitcnt vmcnt(2)
	v_fmac_f64_e32 v[148:149], v[168:169], v[180:181]
	v_fmac_f64_e32 v[150:151], v[180:181], v[160:161]
	;; [unrolled: 1-line block ×3, first 2 shown]
	s_waitcnt vmcnt(1)
	v_fmac_f64_e32 v[148:149], v[162:163], v[182:183]
	v_fmac_f64_e32 v[150:151], v[182:183], v[154:155]
	;; [unrolled: 1-line block ×3, first 2 shown]
	s_waitcnt vmcnt(0)
	v_fmac_f64_e32 v[148:149], v[164:165], v[184:185]
	v_add_f64 v[146:147], v[146:147], -v[148:149]
	v_cndmask_b32_e32 v124, v124, v146, vcc
	v_cndmask_b32_e64 v122, v122, v146, s[12:13]
	v_cndmask_b32_e32 v125, v125, v147, vcc
	v_cndmask_b32_e64 v123, v123, v147, s[12:13]
	v_cmp_eq_u32_e32 vcc, 1, v203
	v_cndmask_b32_e64 v76, v76, v146, s[10:11]
	v_cndmask_b32_e64 v148, v74, v146, s[8:9]
	;; [unrolled: 1-line block ×8, first 2 shown]
	v_cndmask_b32_e32 v74, v123, v125, vcc
	v_cndmask_b32_e32 v75, v122, v124, vcc
	v_cmp_eq_u32_e64 s[0:1], 2, v203
	v_cndmask_b32_e64 v117, v117, v147, s[2:3]
	v_cndmask_b32_e64 v74, v74, v115, s[0:1]
	v_cndmask_b32_e64 v75, v75, v114, s[0:1]
	v_cmp_eq_u32_e64 s[2:3], 3, v203
	v_cndmask_b32_e64 v103, v103, v147, s[4:5]
	v_cndmask_b32_e64 v74, v74, v117, s[2:3]
	v_cndmask_b32_e64 v75, v75, v116, s[2:3]
	;; [unrolled: 4-line block ×3, first 2 shown]
	v_cmp_eq_u32_e64 s[6:7], 5, v203
	v_cndmask_b32_e64 v74, v74, v105, s[6:7]
	v_cndmask_b32_e64 v75, v75, v104, s[6:7]
	v_cmp_eq_u32_e64 s[8:9], 6, v203
	v_cndmask_b32_e64 v77, v77, v147, s[10:11]
	v_cndmask_b32_e64 v74, v74, v146, s[8:9]
	v_cndmask_b32_e64 v147, v75, v148, s[8:9]
	v_cmp_eq_u32_e64 s[10:11], 7, v203
	v_fmac_f64_e32 v[150:151], v[184:185], v[156:157]
	v_cndmask_b32_e64 v75, v74, v77, s[10:11]
	v_cndmask_b32_e64 v74, v147, v76, s[10:11]
	v_add_f64 v[74:75], v[74:75], -v[150:151]
	v_cmp_eq_u32_e64 s[12:13], 0, v203
	v_cndmask_b32_e32 v124, v124, v74, vcc
	v_cndmask_b32_e64 v122, v122, v74, s[12:13]
	v_cndmask_b32_e32 v125, v125, v75, vcc
	v_cndmask_b32_e64 v123, v123, v75, s[12:13]
	v_cmp_eq_u32_e32 vcc, 1, v204
	v_cndmask_b32_e64 v76, v76, v74, s[10:11]
	v_cndmask_b32_e64 v147, v148, v74, s[8:9]
	;; [unrolled: 1-line block ×12, first 2 shown]
	v_cndmask_b32_e32 v74, v123, v125, vcc
	v_cndmask_b32_e32 v75, v122, v124, vcc
	v_cmp_eq_u32_e64 s[0:1], 2, v204
	v_cndmask_b32_e64 v74, v74, v115, s[0:1]
	v_cndmask_b32_e64 v75, v75, v114, s[0:1]
	v_cmp_eq_u32_e64 s[2:3], 3, v204
	v_cndmask_b32_e64 v74, v74, v117, s[2:3]
	v_cndmask_b32_e64 v75, v75, v116, s[2:3]
	;; [unrolled: 3-line block ×5, first 2 shown]
	v_cmp_eq_u32_e64 s[10:11], 7, v204
	v_fmac_f64_e32 v[152:153], v[184:185], v[192:193]
	v_cndmask_b32_e64 v75, v74, v77, s[10:11]
	v_cndmask_b32_e64 v74, v148, v76, s[10:11]
	v_add_f64 v[74:75], v[74:75], -v[152:153]
	v_cmp_eq_u32_e64 s[12:13], 0, v204
	v_cndmask_b32_e32 v124, v124, v74, vcc
	v_cndmask_b32_e64 v148, v122, v74, s[12:13]
	v_cndmask_b32_e32 v125, v125, v75, vcc
	v_cndmask_b32_e64 v149, v123, v75, s[12:13]
	v_cmp_eq_u32_e32 vcc, 1, v205
	v_cndmask_b32_e64 v76, v76, v74, s[10:11]
	v_cndmask_b32_e64 v147, v147, v74, s[8:9]
	;; [unrolled: 1-line block ×12, first 2 shown]
	v_cndmask_b32_e32 v74, v149, v125, vcc
	v_cndmask_b32_e32 v75, v148, v124, vcc
	v_cmp_eq_u32_e64 s[0:1], 2, v205
	v_cndmask_b32_e64 v74, v74, v115, s[0:1]
	v_cndmask_b32_e64 v75, v75, v114, s[0:1]
	v_cmp_eq_u32_e64 s[2:3], 3, v205
	v_cndmask_b32_e64 v74, v74, v117, s[2:3]
	v_cndmask_b32_e64 v75, v75, v116, s[2:3]
	v_cmp_eq_u32_e64 s[4:5], 4, v205
	v_fma_f64 v[158:159], v[178:179], v[194:195], 0
	v_cndmask_b32_e64 v74, v74, v103, s[4:5]
	v_cndmask_b32_e64 v75, v75, v102, s[4:5]
	v_cmp_eq_u32_e64 s[6:7], 5, v205
	v_fmac_f64_e32 v[158:159], v[180:181], v[196:197]
	v_cndmask_b32_e64 v74, v74, v105, s[6:7]
	v_cndmask_b32_e64 v75, v75, v104, s[6:7]
	v_cmp_eq_u32_e64 s[8:9], 6, v205
	v_fmac_f64_e32 v[158:159], v[182:183], v[198:199]
	;; [unrolled: 4-line block ×3, first 2 shown]
	v_cndmask_b32_e64 v75, v74, v77, s[10:11]
	v_cndmask_b32_e64 v74, v122, v76, s[10:11]
	v_add_f64 v[122:123], v[74:75], -v[158:159]
	v_cndmask_b32_e32 v125, v125, v123, vcc
	v_cndmask_b32_e32 v124, v124, v122, vcc
	v_cmp_eq_u32_e32 vcc, 0, v205
	v_cndmask_b32_e64 v77, v77, v123, s[10:11]
	v_cndmask_b32_e64 v76, v76, v122, s[10:11]
	;; [unrolled: 1-line block ×12, first 2 shown]
	v_cndmask_b32_e32 v123, v149, v123, vcc
	v_cndmask_b32_e32 v122, v148, v122, vcc
.LBB1_15:                               ;   in Loop: Header=BB1_11 Depth=2
	s_or_b64 exec, exec, s[14:15]
	global_load_dwordx2 v[146:147], v[174:175], off offset:16
	v_mov_b32_e32 v148, s65
	s_waitcnt vmcnt(0)
	v_lshlrev_b64 v[146:147], 3, v[146:147]
	v_add_co_u32_e32 v146, vcc, s64, v146
	v_addc_co_u32_e32 v147, vcc, v148, v147, vcc
	global_load_dwordx2 v[148:149], v[176:177], off offset:16
	s_nop 0
	global_load_dwordx2 v[146:147], v[146:147], off
	s_waitcnt vmcnt(1)
	v_cmp_ne_u64_e32 vcc, 0, v[148:149]
	s_waitcnt vmcnt(0)
	v_cmp_lt_i64_e64 s[0:1], -1, v[146:147]
	s_and_b64 s[0:1], s[0:1], vcc
	s_and_saveexec_b64 s[14:15], s[0:1]
	s_cbranch_execz .LBB1_17
; %bb.16:                               ;   in Loop: Header=BB1_11 Depth=2
	v_lshlrev_b64 v[148:149], 5, v[146:147]
	v_mov_b32_e32 v151, s69
	v_add_co_u32_e32 v150, vcc, s68, v148
	v_addc_co_u32_e32 v151, vcc, v151, v149, vcc
	global_load_dwordx2 v[150:151], v[150:151], off
	v_mov_b32_e32 v156, s72
	v_mov_b32_e32 v157, s68
	;; [unrolled: 1-line block ×9, first 2 shown]
	s_waitcnt vmcnt(0)
	v_ashrrev_i32_e32 v154, 31, v151
	v_lshrrev_b32_e32 v154, 29, v154
	v_add_co_u32_e32 v150, vcc, v150, v154
	v_addc_co_u32_e32 v151, vcc, 0, v151, vcc
	v_ashrrev_i64 v[150:151], 3, v[150:151]
	v_cmp_eq_u64_e32 vcc, v[170:171], v[150:151]
	v_cndmask_b32_e32 v150, v157, v156, vcc
	v_cndmask_b32_e32 v151, v153, v152, vcc
	v_add_co_u32_e64 v150, s[0:1], v150, v148
	v_addc_co_u32_e64 v151, s[0:1], v151, v149, s[0:1]
	global_load_dwordx4 v[178:181], v[150:151], off
	global_load_dwordx4 v[182:185], v[150:151], off offset:16
	v_lshlrev_b64 v[154:155], 8, v[146:147]
	v_cndmask_b32_e32 v146, v156, v157, vcc
	v_cndmask_b32_e32 v158, v152, v153, vcc
	v_cndmask_b32_e64 v147, 0, 1, vcc
	v_add_co_u32_e32 v150, vcc, v146, v148
	v_addc_co_u32_e32 v151, vcc, v158, v149, vcc
	v_lshlrev_b32_e32 v156, 7, v147
	global_load_dwordx4 v[146:149], v[150:151], off offset:16
	s_nop 0
	global_load_dwordx4 v[150:153], v[150:151], off
	v_add_co_u32_e32 v156, vcc, s81, v156
	v_addc_co_u32_e32 v157, vcc, 0, v159, vcc
	v_add_co_u32_e32 v198, vcc, v156, v154
	v_addc_co_u32_e32 v199, vcc, v157, v155, vcc
	global_load_dwordx4 v[166:169], v[198:199], off
	global_load_dwordx4 v[162:165], v[198:199], off offset:16
	global_load_dwordx4 v[158:161], v[198:199], off offset:32
	;; [unrolled: 1-line block ×6, first 2 shown]
	s_nop 0
	global_load_dwordx4 v[198:201], v[198:199], off offset:112
	s_waitcnt vmcnt(11)
	v_lshlrev_b64 v[178:179], 3, v[178:179]
	v_add_co_u32_e32 v178, vcc, s88, v178
	v_lshlrev_b64 v[180:181], 3, v[180:181]
	v_addc_co_u32_e32 v179, vcc, v202, v179, vcc
	v_add_co_u32_e32 v180, vcc, s88, v180
	s_waitcnt vmcnt(10)
	v_lshlrev_b64 v[182:183], 3, v[182:183]
	v_addc_co_u32_e32 v181, vcc, v203, v181, vcc
	v_add_co_u32_e32 v182, vcc, s88, v182
	v_lshlrev_b64 v[184:185], 3, v[184:185]
	global_load_dwordx2 v[178:179], v[178:179], off
	v_addc_co_u32_e32 v183, vcc, v204, v183, vcc
	global_load_dwordx2 v[180:181], v[180:181], off
	v_add_co_u32_e32 v184, vcc, s88, v184
	global_load_dwordx2 v[182:183], v[182:183], off
	v_addc_co_u32_e32 v185, vcc, v205, v185, vcc
	global_load_dwordx2 v[184:185], v[184:185], off
	s_waitcnt vmcnt(12)
	v_ashrrev_i32_e32 v151, 31, v151
	v_lshrrev_b32_e32 v151, 29, v151
	v_ashrrev_i32_e32 v147, 31, v147
	v_add_u32_e32 v151, v150, v151
	v_lshrrev_b32_e32 v147, 29, v147
	v_and_b32_e32 v151, -8, v151
	v_add_u32_e32 v147, v146, v147
	v_sub_u32_e32 v202, v150, v151
	v_and_b32_e32 v147, -8, v147
	v_cmp_eq_u32_e32 vcc, 1, v202
	v_sub_u32_e32 v204, v146, v147
	v_cndmask_b32_e32 v146, v123, v125, vcc
	v_cmp_eq_u32_e64 s[0:1], 2, v202
	v_ashrrev_i32_e32 v149, 31, v149
	v_cndmask_b32_e64 v146, v146, v115, s[0:1]
	v_cndmask_b32_e32 v147, v122, v124, vcc
	v_cmp_eq_u32_e64 s[2:3], 3, v202
	v_lshrrev_b32_e32 v149, 29, v149
	v_cndmask_b32_e64 v146, v146, v117, s[2:3]
	v_cndmask_b32_e64 v147, v147, v114, s[0:1]
	v_cmp_eq_u32_e64 s[4:5], 4, v202
	v_add_u32_e32 v149, v148, v149
	v_cndmask_b32_e64 v146, v146, v103, s[4:5]
	v_cndmask_b32_e64 v147, v147, v116, s[2:3]
	v_cmp_eq_u32_e64 s[6:7], 5, v202
	v_and_b32_e32 v149, -8, v149
	v_cndmask_b32_e64 v146, v146, v105, s[6:7]
	v_cndmask_b32_e64 v147, v147, v102, s[4:5]
	v_cmp_eq_u32_e64 s[8:9], 6, v202
	s_waitcnt vmcnt(11)
	v_mul_f64 v[166:167], v[226:227], v[166:167]
	v_sub_u32_e32 v205, v148, v149
	v_cndmask_b32_e64 v146, v146, v75, s[8:9]
	v_cndmask_b32_e64 v148, v147, v104, s[6:7]
	v_cmp_eq_u32_e64 s[10:11], 7, v202
	v_ashrrev_i32_e32 v153, 31, v153
	v_mul_f64 v[168:169], v[226:227], v[168:169]
	v_cndmask_b32_e64 v147, v146, v77, s[10:11]
	v_cndmask_b32_e64 v146, v148, v74, s[8:9]
	v_lshrrev_b32_e32 v153, 29, v153
	s_waitcnt vmcnt(10)
	v_mul_f64 v[162:163], v[226:227], v[162:163]
	v_mul_f64 v[164:165], v[226:227], v[164:165]
	v_add_u32_e32 v153, v152, v153
	v_and_b32_e32 v153, -8, v153
	v_cndmask_b32_e64 v146, v146, v76, s[10:11]
	v_sub_u32_e32 v203, v152, v153
	v_cmp_eq_u32_e64 s[12:13], 0, v202
	s_waitcnt vmcnt(9)
	v_mul_f64 v[158:159], v[226:227], v[158:159]
	v_mul_f64 v[160:161], v[226:227], v[160:161]
	s_waitcnt vmcnt(8)
	v_mul_f64 v[154:155], v[226:227], v[154:155]
	v_mul_f64 v[156:157], v[226:227], v[156:157]
	;; [unrolled: 3-line block ×6, first 2 shown]
	s_waitcnt vmcnt(3)
	v_fma_f64 v[148:149], v[166:167], v[178:179], 0
	v_fma_f64 v[150:151], v[178:179], v[158:159], 0
	;; [unrolled: 1-line block ×3, first 2 shown]
	s_waitcnt vmcnt(2)
	v_fmac_f64_e32 v[148:149], v[168:169], v[180:181]
	v_fmac_f64_e32 v[150:151], v[180:181], v[160:161]
	;; [unrolled: 1-line block ×3, first 2 shown]
	s_waitcnt vmcnt(1)
	v_fmac_f64_e32 v[148:149], v[162:163], v[182:183]
	v_fmac_f64_e32 v[150:151], v[182:183], v[154:155]
	;; [unrolled: 1-line block ×3, first 2 shown]
	s_waitcnt vmcnt(0)
	v_fmac_f64_e32 v[148:149], v[164:165], v[184:185]
	v_add_f64 v[146:147], v[146:147], -v[148:149]
	v_cndmask_b32_e32 v124, v124, v146, vcc
	v_cndmask_b32_e64 v122, v122, v146, s[12:13]
	v_cndmask_b32_e32 v125, v125, v147, vcc
	v_cndmask_b32_e64 v123, v123, v147, s[12:13]
	v_cmp_eq_u32_e32 vcc, 1, v203
	v_cndmask_b32_e64 v76, v76, v146, s[10:11]
	v_cndmask_b32_e64 v148, v74, v146, s[8:9]
	;; [unrolled: 1-line block ×8, first 2 shown]
	v_cndmask_b32_e32 v74, v123, v125, vcc
	v_cndmask_b32_e32 v75, v122, v124, vcc
	v_cmp_eq_u32_e64 s[0:1], 2, v203
	v_cndmask_b32_e64 v117, v117, v147, s[2:3]
	v_cndmask_b32_e64 v74, v74, v115, s[0:1]
	v_cndmask_b32_e64 v75, v75, v114, s[0:1]
	v_cmp_eq_u32_e64 s[2:3], 3, v203
	v_cndmask_b32_e64 v103, v103, v147, s[4:5]
	v_cndmask_b32_e64 v74, v74, v117, s[2:3]
	v_cndmask_b32_e64 v75, v75, v116, s[2:3]
	v_cmp_eq_u32_e64 s[4:5], 4, v203
	v_cndmask_b32_e64 v105, v105, v147, s[6:7]
	v_cndmask_b32_e64 v74, v74, v103, s[4:5]
	v_cndmask_b32_e64 v75, v75, v102, s[4:5]
	v_cmp_eq_u32_e64 s[6:7], 5, v203
	v_cndmask_b32_e64 v74, v74, v105, s[6:7]
	v_cndmask_b32_e64 v75, v75, v104, s[6:7]
	v_cmp_eq_u32_e64 s[8:9], 6, v203
	v_cndmask_b32_e64 v77, v77, v147, s[10:11]
	v_cndmask_b32_e64 v74, v74, v146, s[8:9]
	;; [unrolled: 1-line block ×3, first 2 shown]
	v_cmp_eq_u32_e64 s[10:11], 7, v203
	v_fmac_f64_e32 v[150:151], v[184:185], v[156:157]
	v_cndmask_b32_e64 v75, v74, v77, s[10:11]
	v_cndmask_b32_e64 v74, v147, v76, s[10:11]
	v_add_f64 v[74:75], v[74:75], -v[150:151]
	v_cmp_eq_u32_e64 s[12:13], 0, v203
	v_cndmask_b32_e32 v124, v124, v74, vcc
	v_cndmask_b32_e64 v122, v122, v74, s[12:13]
	v_cndmask_b32_e32 v125, v125, v75, vcc
	v_cndmask_b32_e64 v123, v123, v75, s[12:13]
	v_cmp_eq_u32_e32 vcc, 1, v204
	v_cndmask_b32_e64 v76, v76, v74, s[10:11]
	v_cndmask_b32_e64 v147, v148, v74, s[8:9]
	;; [unrolled: 1-line block ×12, first 2 shown]
	v_cndmask_b32_e32 v74, v123, v125, vcc
	v_cndmask_b32_e32 v75, v122, v124, vcc
	v_cmp_eq_u32_e64 s[0:1], 2, v204
	v_cndmask_b32_e64 v74, v74, v115, s[0:1]
	v_cndmask_b32_e64 v75, v75, v114, s[0:1]
	v_cmp_eq_u32_e64 s[2:3], 3, v204
	v_cndmask_b32_e64 v74, v74, v117, s[2:3]
	v_cndmask_b32_e64 v75, v75, v116, s[2:3]
	;; [unrolled: 3-line block ×5, first 2 shown]
	v_cmp_eq_u32_e64 s[10:11], 7, v204
	v_fmac_f64_e32 v[152:153], v[184:185], v[192:193]
	v_cndmask_b32_e64 v75, v74, v77, s[10:11]
	v_cndmask_b32_e64 v74, v148, v76, s[10:11]
	v_add_f64 v[74:75], v[74:75], -v[152:153]
	v_cmp_eq_u32_e64 s[12:13], 0, v204
	v_cndmask_b32_e32 v124, v124, v74, vcc
	v_cndmask_b32_e64 v148, v122, v74, s[12:13]
	v_cndmask_b32_e32 v125, v125, v75, vcc
	v_cndmask_b32_e64 v149, v123, v75, s[12:13]
	v_cmp_eq_u32_e32 vcc, 1, v205
	v_cndmask_b32_e64 v76, v76, v74, s[10:11]
	v_cndmask_b32_e64 v147, v147, v74, s[8:9]
	;; [unrolled: 1-line block ×12, first 2 shown]
	v_cndmask_b32_e32 v74, v149, v125, vcc
	v_cndmask_b32_e32 v75, v148, v124, vcc
	v_cmp_eq_u32_e64 s[0:1], 2, v205
	v_cndmask_b32_e64 v74, v74, v115, s[0:1]
	v_cndmask_b32_e64 v75, v75, v114, s[0:1]
	v_cmp_eq_u32_e64 s[2:3], 3, v205
	v_cndmask_b32_e64 v74, v74, v117, s[2:3]
	v_cndmask_b32_e64 v75, v75, v116, s[2:3]
	v_cmp_eq_u32_e64 s[4:5], 4, v205
	v_fma_f64 v[158:159], v[178:179], v[194:195], 0
	v_cndmask_b32_e64 v74, v74, v103, s[4:5]
	v_cndmask_b32_e64 v75, v75, v102, s[4:5]
	v_cmp_eq_u32_e64 s[6:7], 5, v205
	v_fmac_f64_e32 v[158:159], v[180:181], v[196:197]
	v_cndmask_b32_e64 v74, v74, v105, s[6:7]
	v_cndmask_b32_e64 v75, v75, v104, s[6:7]
	v_cmp_eq_u32_e64 s[8:9], 6, v205
	v_fmac_f64_e32 v[158:159], v[182:183], v[198:199]
	;; [unrolled: 4-line block ×3, first 2 shown]
	v_cndmask_b32_e64 v75, v74, v77, s[10:11]
	v_cndmask_b32_e64 v74, v122, v76, s[10:11]
	v_add_f64 v[122:123], v[74:75], -v[158:159]
	v_cndmask_b32_e32 v125, v125, v123, vcc
	v_cndmask_b32_e32 v124, v124, v122, vcc
	v_cmp_eq_u32_e32 vcc, 0, v205
	v_cndmask_b32_e64 v77, v77, v123, s[10:11]
	v_cndmask_b32_e64 v76, v76, v122, s[10:11]
	;; [unrolled: 1-line block ×12, first 2 shown]
	v_cndmask_b32_e32 v123, v149, v123, vcc
	v_cndmask_b32_e32 v122, v148, v122, vcc
.LBB1_17:                               ;   in Loop: Header=BB1_11 Depth=2
	s_or_b64 exec, exec, s[14:15]
	global_load_dwordx2 v[146:147], v[174:175], off offset:24
	v_mov_b32_e32 v148, s65
	s_waitcnt vmcnt(0)
	v_lshlrev_b64 v[146:147], 3, v[146:147]
	v_add_co_u32_e32 v146, vcc, s64, v146
	v_addc_co_u32_e32 v147, vcc, v148, v147, vcc
	global_load_dwordx2 v[148:149], v[176:177], off offset:24
	s_nop 0
	global_load_dwordx2 v[146:147], v[146:147], off
	s_waitcnt vmcnt(1)
	v_cmp_ne_u64_e32 vcc, 0, v[148:149]
	s_waitcnt vmcnt(0)
	v_cmp_lt_i64_e64 s[0:1], -1, v[146:147]
	s_and_b64 s[0:1], s[0:1], vcc
	s_and_saveexec_b64 s[14:15], s[0:1]
	s_cbranch_execz .LBB1_19
; %bb.18:                               ;   in Loop: Header=BB1_11 Depth=2
	v_lshlrev_b64 v[148:149], 5, v[146:147]
	v_mov_b32_e32 v151, s69
	v_add_co_u32_e32 v150, vcc, s68, v148
	v_addc_co_u32_e32 v151, vcc, v151, v149, vcc
	global_load_dwordx2 v[150:151], v[150:151], off
	v_mov_b32_e32 v156, s72
	v_mov_b32_e32 v157, s68
	;; [unrolled: 1-line block ×9, first 2 shown]
	s_waitcnt vmcnt(0)
	v_ashrrev_i32_e32 v154, 31, v151
	v_lshrrev_b32_e32 v154, 29, v154
	v_add_co_u32_e32 v150, vcc, v150, v154
	v_addc_co_u32_e32 v151, vcc, 0, v151, vcc
	v_ashrrev_i64 v[150:151], 3, v[150:151]
	v_cmp_eq_u64_e32 vcc, v[170:171], v[150:151]
	v_cndmask_b32_e32 v150, v157, v156, vcc
	v_cndmask_b32_e32 v151, v153, v152, vcc
	v_add_co_u32_e64 v150, s[0:1], v150, v148
	v_addc_co_u32_e64 v151, s[0:1], v151, v149, s[0:1]
	global_load_dwordx4 v[178:181], v[150:151], off
	global_load_dwordx4 v[182:185], v[150:151], off offset:16
	v_lshlrev_b64 v[154:155], 8, v[146:147]
	v_cndmask_b32_e32 v146, v156, v157, vcc
	v_cndmask_b32_e32 v158, v152, v153, vcc
	v_cndmask_b32_e64 v147, 0, 1, vcc
	v_add_co_u32_e32 v150, vcc, v146, v148
	v_addc_co_u32_e32 v151, vcc, v158, v149, vcc
	v_lshlrev_b32_e32 v156, 7, v147
	global_load_dwordx4 v[146:149], v[150:151], off offset:16
	s_nop 0
	global_load_dwordx4 v[150:153], v[150:151], off
	v_add_co_u32_e32 v156, vcc, s81, v156
	v_addc_co_u32_e32 v157, vcc, 0, v159, vcc
	v_add_co_u32_e32 v198, vcc, v156, v154
	v_addc_co_u32_e32 v199, vcc, v157, v155, vcc
	global_load_dwordx4 v[166:169], v[198:199], off
	global_load_dwordx4 v[162:165], v[198:199], off offset:16
	global_load_dwordx4 v[158:161], v[198:199], off offset:32
	;; [unrolled: 1-line block ×6, first 2 shown]
	s_nop 0
	global_load_dwordx4 v[198:201], v[198:199], off offset:112
	s_waitcnt vmcnt(11)
	v_lshlrev_b64 v[178:179], 3, v[178:179]
	v_add_co_u32_e32 v178, vcc, s88, v178
	v_lshlrev_b64 v[180:181], 3, v[180:181]
	v_addc_co_u32_e32 v179, vcc, v202, v179, vcc
	v_add_co_u32_e32 v180, vcc, s88, v180
	s_waitcnt vmcnt(10)
	v_lshlrev_b64 v[182:183], 3, v[182:183]
	v_addc_co_u32_e32 v181, vcc, v203, v181, vcc
	v_add_co_u32_e32 v182, vcc, s88, v182
	v_lshlrev_b64 v[184:185], 3, v[184:185]
	global_load_dwordx2 v[178:179], v[178:179], off
	v_addc_co_u32_e32 v183, vcc, v204, v183, vcc
	global_load_dwordx2 v[180:181], v[180:181], off
	v_add_co_u32_e32 v184, vcc, s88, v184
	global_load_dwordx2 v[182:183], v[182:183], off
	v_addc_co_u32_e32 v185, vcc, v205, v185, vcc
	global_load_dwordx2 v[184:185], v[184:185], off
	s_waitcnt vmcnt(12)
	v_ashrrev_i32_e32 v151, 31, v151
	v_lshrrev_b32_e32 v151, 29, v151
	v_ashrrev_i32_e32 v147, 31, v147
	v_add_u32_e32 v151, v150, v151
	v_lshrrev_b32_e32 v147, 29, v147
	v_and_b32_e32 v151, -8, v151
	v_add_u32_e32 v147, v146, v147
	v_sub_u32_e32 v202, v150, v151
	v_and_b32_e32 v147, -8, v147
	v_cmp_eq_u32_e32 vcc, 1, v202
	v_sub_u32_e32 v204, v146, v147
	v_cndmask_b32_e32 v146, v123, v125, vcc
	v_cmp_eq_u32_e64 s[0:1], 2, v202
	v_ashrrev_i32_e32 v149, 31, v149
	v_cndmask_b32_e64 v146, v146, v115, s[0:1]
	v_cndmask_b32_e32 v147, v122, v124, vcc
	v_cmp_eq_u32_e64 s[2:3], 3, v202
	v_lshrrev_b32_e32 v149, 29, v149
	v_cndmask_b32_e64 v146, v146, v117, s[2:3]
	v_cndmask_b32_e64 v147, v147, v114, s[0:1]
	v_cmp_eq_u32_e64 s[4:5], 4, v202
	v_add_u32_e32 v149, v148, v149
	v_cndmask_b32_e64 v146, v146, v103, s[4:5]
	v_cndmask_b32_e64 v147, v147, v116, s[2:3]
	v_cmp_eq_u32_e64 s[6:7], 5, v202
	v_and_b32_e32 v149, -8, v149
	v_cndmask_b32_e64 v146, v146, v105, s[6:7]
	v_cndmask_b32_e64 v147, v147, v102, s[4:5]
	v_cmp_eq_u32_e64 s[8:9], 6, v202
	s_waitcnt vmcnt(11)
	v_mul_f64 v[166:167], v[226:227], v[166:167]
	v_sub_u32_e32 v205, v148, v149
	v_cndmask_b32_e64 v146, v146, v75, s[8:9]
	v_cndmask_b32_e64 v148, v147, v104, s[6:7]
	v_cmp_eq_u32_e64 s[10:11], 7, v202
	v_ashrrev_i32_e32 v153, 31, v153
	v_mul_f64 v[168:169], v[226:227], v[168:169]
	v_cndmask_b32_e64 v147, v146, v77, s[10:11]
	v_cndmask_b32_e64 v146, v148, v74, s[8:9]
	v_lshrrev_b32_e32 v153, 29, v153
	s_waitcnt vmcnt(10)
	v_mul_f64 v[162:163], v[226:227], v[162:163]
	v_mul_f64 v[164:165], v[226:227], v[164:165]
	v_add_u32_e32 v153, v152, v153
	v_and_b32_e32 v153, -8, v153
	v_cndmask_b32_e64 v146, v146, v76, s[10:11]
	v_sub_u32_e32 v203, v152, v153
	v_cmp_eq_u32_e64 s[12:13], 0, v202
	s_waitcnt vmcnt(9)
	v_mul_f64 v[158:159], v[226:227], v[158:159]
	v_mul_f64 v[160:161], v[226:227], v[160:161]
	s_waitcnt vmcnt(8)
	v_mul_f64 v[154:155], v[226:227], v[154:155]
	v_mul_f64 v[156:157], v[226:227], v[156:157]
	;; [unrolled: 3-line block ×6, first 2 shown]
	s_waitcnt vmcnt(3)
	v_fma_f64 v[148:149], v[166:167], v[178:179], 0
	v_fma_f64 v[150:151], v[178:179], v[158:159], 0
	;; [unrolled: 1-line block ×3, first 2 shown]
	s_waitcnt vmcnt(2)
	v_fmac_f64_e32 v[148:149], v[168:169], v[180:181]
	v_fmac_f64_e32 v[150:151], v[180:181], v[160:161]
	;; [unrolled: 1-line block ×3, first 2 shown]
	s_waitcnt vmcnt(1)
	v_fmac_f64_e32 v[148:149], v[162:163], v[182:183]
	v_fmac_f64_e32 v[150:151], v[182:183], v[154:155]
	;; [unrolled: 1-line block ×3, first 2 shown]
	s_waitcnt vmcnt(0)
	v_fmac_f64_e32 v[148:149], v[164:165], v[184:185]
	v_add_f64 v[146:147], v[146:147], -v[148:149]
	v_cndmask_b32_e32 v124, v124, v146, vcc
	v_cndmask_b32_e64 v122, v122, v146, s[12:13]
	v_cndmask_b32_e32 v125, v125, v147, vcc
	v_cndmask_b32_e64 v123, v123, v147, s[12:13]
	v_cmp_eq_u32_e32 vcc, 1, v203
	v_cndmask_b32_e64 v76, v76, v146, s[10:11]
	v_cndmask_b32_e64 v148, v74, v146, s[8:9]
	;; [unrolled: 1-line block ×8, first 2 shown]
	v_cndmask_b32_e32 v74, v123, v125, vcc
	v_cndmask_b32_e32 v75, v122, v124, vcc
	v_cmp_eq_u32_e64 s[0:1], 2, v203
	v_cndmask_b32_e64 v117, v117, v147, s[2:3]
	v_cndmask_b32_e64 v74, v74, v115, s[0:1]
	v_cndmask_b32_e64 v75, v75, v114, s[0:1]
	v_cmp_eq_u32_e64 s[2:3], 3, v203
	v_cndmask_b32_e64 v103, v103, v147, s[4:5]
	v_cndmask_b32_e64 v74, v74, v117, s[2:3]
	v_cndmask_b32_e64 v75, v75, v116, s[2:3]
	;; [unrolled: 4-line block ×3, first 2 shown]
	v_cmp_eq_u32_e64 s[6:7], 5, v203
	v_cndmask_b32_e64 v74, v74, v105, s[6:7]
	v_cndmask_b32_e64 v75, v75, v104, s[6:7]
	v_cmp_eq_u32_e64 s[8:9], 6, v203
	v_cndmask_b32_e64 v77, v77, v147, s[10:11]
	v_cndmask_b32_e64 v74, v74, v146, s[8:9]
	;; [unrolled: 1-line block ×3, first 2 shown]
	v_cmp_eq_u32_e64 s[10:11], 7, v203
	v_fmac_f64_e32 v[150:151], v[184:185], v[156:157]
	v_cndmask_b32_e64 v75, v74, v77, s[10:11]
	v_cndmask_b32_e64 v74, v147, v76, s[10:11]
	v_add_f64 v[74:75], v[74:75], -v[150:151]
	v_cmp_eq_u32_e64 s[12:13], 0, v203
	v_cndmask_b32_e32 v124, v124, v74, vcc
	v_cndmask_b32_e64 v122, v122, v74, s[12:13]
	v_cndmask_b32_e32 v125, v125, v75, vcc
	v_cndmask_b32_e64 v123, v123, v75, s[12:13]
	v_cmp_eq_u32_e32 vcc, 1, v204
	v_cndmask_b32_e64 v76, v76, v74, s[10:11]
	v_cndmask_b32_e64 v147, v148, v74, s[8:9]
	;; [unrolled: 1-line block ×12, first 2 shown]
	v_cndmask_b32_e32 v74, v123, v125, vcc
	v_cndmask_b32_e32 v75, v122, v124, vcc
	v_cmp_eq_u32_e64 s[0:1], 2, v204
	v_cndmask_b32_e64 v74, v74, v115, s[0:1]
	v_cndmask_b32_e64 v75, v75, v114, s[0:1]
	v_cmp_eq_u32_e64 s[2:3], 3, v204
	v_cndmask_b32_e64 v74, v74, v117, s[2:3]
	v_cndmask_b32_e64 v75, v75, v116, s[2:3]
	;; [unrolled: 3-line block ×5, first 2 shown]
	v_cmp_eq_u32_e64 s[10:11], 7, v204
	v_fmac_f64_e32 v[152:153], v[184:185], v[192:193]
	v_cndmask_b32_e64 v75, v74, v77, s[10:11]
	v_cndmask_b32_e64 v74, v148, v76, s[10:11]
	v_add_f64 v[74:75], v[74:75], -v[152:153]
	v_cmp_eq_u32_e64 s[12:13], 0, v204
	v_cndmask_b32_e32 v124, v124, v74, vcc
	v_cndmask_b32_e64 v148, v122, v74, s[12:13]
	v_cndmask_b32_e32 v125, v125, v75, vcc
	v_cndmask_b32_e64 v149, v123, v75, s[12:13]
	v_cmp_eq_u32_e32 vcc, 1, v205
	v_cndmask_b32_e64 v76, v76, v74, s[10:11]
	v_cndmask_b32_e64 v147, v147, v74, s[8:9]
	;; [unrolled: 1-line block ×12, first 2 shown]
	v_cndmask_b32_e32 v74, v149, v125, vcc
	v_cndmask_b32_e32 v75, v148, v124, vcc
	v_cmp_eq_u32_e64 s[0:1], 2, v205
	v_cndmask_b32_e64 v74, v74, v115, s[0:1]
	v_cndmask_b32_e64 v75, v75, v114, s[0:1]
	v_cmp_eq_u32_e64 s[2:3], 3, v205
	v_cndmask_b32_e64 v74, v74, v117, s[2:3]
	v_cndmask_b32_e64 v75, v75, v116, s[2:3]
	v_cmp_eq_u32_e64 s[4:5], 4, v205
	v_fma_f64 v[158:159], v[178:179], v[194:195], 0
	v_cndmask_b32_e64 v74, v74, v103, s[4:5]
	v_cndmask_b32_e64 v75, v75, v102, s[4:5]
	v_cmp_eq_u32_e64 s[6:7], 5, v205
	v_fmac_f64_e32 v[158:159], v[180:181], v[196:197]
	v_cndmask_b32_e64 v74, v74, v105, s[6:7]
	v_cndmask_b32_e64 v75, v75, v104, s[6:7]
	v_cmp_eq_u32_e64 s[8:9], 6, v205
	v_fmac_f64_e32 v[158:159], v[182:183], v[198:199]
	;; [unrolled: 4-line block ×3, first 2 shown]
	v_cndmask_b32_e64 v75, v74, v77, s[10:11]
	v_cndmask_b32_e64 v74, v122, v76, s[10:11]
	v_add_f64 v[122:123], v[74:75], -v[158:159]
	v_cndmask_b32_e32 v125, v125, v123, vcc
	v_cndmask_b32_e32 v124, v124, v122, vcc
	v_cmp_eq_u32_e32 vcc, 0, v205
	v_cndmask_b32_e64 v77, v77, v123, s[10:11]
	v_cndmask_b32_e64 v76, v76, v122, s[10:11]
	;; [unrolled: 1-line block ×12, first 2 shown]
	v_cndmask_b32_e32 v123, v149, v123, vcc
	v_cndmask_b32_e32 v122, v148, v122, vcc
.LBB1_19:                               ;   in Loop: Header=BB1_11 Depth=2
	s_or_b64 exec, exec, s[14:15]
	global_load_dwordx2 v[146:147], v[174:175], off offset:32
	v_mov_b32_e32 v148, s65
	s_waitcnt vmcnt(0)
	v_lshlrev_b64 v[146:147], 3, v[146:147]
	v_add_co_u32_e32 v146, vcc, s64, v146
	v_addc_co_u32_e32 v147, vcc, v148, v147, vcc
	global_load_dwordx2 v[148:149], v[176:177], off offset:32
	s_nop 0
	global_load_dwordx2 v[146:147], v[146:147], off
	s_waitcnt vmcnt(1)
	v_cmp_ne_u64_e32 vcc, 0, v[148:149]
	s_waitcnt vmcnt(0)
	v_cmp_lt_i64_e64 s[0:1], -1, v[146:147]
	s_and_b64 s[0:1], s[0:1], vcc
	s_and_saveexec_b64 s[14:15], s[0:1]
	s_cbranch_execz .LBB1_21
; %bb.20:                               ;   in Loop: Header=BB1_11 Depth=2
	v_lshlrev_b64 v[148:149], 5, v[146:147]
	v_mov_b32_e32 v151, s69
	v_add_co_u32_e32 v150, vcc, s68, v148
	v_addc_co_u32_e32 v151, vcc, v151, v149, vcc
	global_load_dwordx2 v[150:151], v[150:151], off
	v_mov_b32_e32 v156, s72
	v_mov_b32_e32 v157, s68
	;; [unrolled: 1-line block ×9, first 2 shown]
	s_waitcnt vmcnt(0)
	v_ashrrev_i32_e32 v154, 31, v151
	v_lshrrev_b32_e32 v154, 29, v154
	v_add_co_u32_e32 v150, vcc, v150, v154
	v_addc_co_u32_e32 v151, vcc, 0, v151, vcc
	v_ashrrev_i64 v[150:151], 3, v[150:151]
	v_cmp_eq_u64_e32 vcc, v[170:171], v[150:151]
	v_cndmask_b32_e32 v150, v157, v156, vcc
	v_cndmask_b32_e32 v151, v153, v152, vcc
	v_add_co_u32_e64 v150, s[0:1], v150, v148
	v_addc_co_u32_e64 v151, s[0:1], v151, v149, s[0:1]
	global_load_dwordx4 v[178:181], v[150:151], off
	global_load_dwordx4 v[182:185], v[150:151], off offset:16
	v_lshlrev_b64 v[154:155], 8, v[146:147]
	v_cndmask_b32_e32 v146, v156, v157, vcc
	v_cndmask_b32_e32 v158, v152, v153, vcc
	v_cndmask_b32_e64 v147, 0, 1, vcc
	v_add_co_u32_e32 v150, vcc, v146, v148
	v_addc_co_u32_e32 v151, vcc, v158, v149, vcc
	v_lshlrev_b32_e32 v156, 7, v147
	global_load_dwordx4 v[146:149], v[150:151], off offset:16
	s_nop 0
	global_load_dwordx4 v[150:153], v[150:151], off
	v_add_co_u32_e32 v156, vcc, s81, v156
	v_addc_co_u32_e32 v157, vcc, 0, v159, vcc
	v_add_co_u32_e32 v198, vcc, v156, v154
	v_addc_co_u32_e32 v199, vcc, v157, v155, vcc
	global_load_dwordx4 v[166:169], v[198:199], off
	global_load_dwordx4 v[162:165], v[198:199], off offset:16
	global_load_dwordx4 v[158:161], v[198:199], off offset:32
	;; [unrolled: 1-line block ×6, first 2 shown]
	s_nop 0
	global_load_dwordx4 v[198:201], v[198:199], off offset:112
	s_waitcnt vmcnt(11)
	v_lshlrev_b64 v[178:179], 3, v[178:179]
	v_add_co_u32_e32 v178, vcc, s88, v178
	v_lshlrev_b64 v[180:181], 3, v[180:181]
	v_addc_co_u32_e32 v179, vcc, v202, v179, vcc
	v_add_co_u32_e32 v180, vcc, s88, v180
	s_waitcnt vmcnt(10)
	v_lshlrev_b64 v[182:183], 3, v[182:183]
	v_addc_co_u32_e32 v181, vcc, v203, v181, vcc
	v_add_co_u32_e32 v182, vcc, s88, v182
	v_lshlrev_b64 v[184:185], 3, v[184:185]
	global_load_dwordx2 v[178:179], v[178:179], off
	v_addc_co_u32_e32 v183, vcc, v204, v183, vcc
	global_load_dwordx2 v[180:181], v[180:181], off
	v_add_co_u32_e32 v184, vcc, s88, v184
	global_load_dwordx2 v[182:183], v[182:183], off
	v_addc_co_u32_e32 v185, vcc, v205, v185, vcc
	global_load_dwordx2 v[184:185], v[184:185], off
	s_waitcnt vmcnt(12)
	v_ashrrev_i32_e32 v151, 31, v151
	v_lshrrev_b32_e32 v151, 29, v151
	v_ashrrev_i32_e32 v147, 31, v147
	v_add_u32_e32 v151, v150, v151
	v_lshrrev_b32_e32 v147, 29, v147
	v_and_b32_e32 v151, -8, v151
	v_add_u32_e32 v147, v146, v147
	v_sub_u32_e32 v202, v150, v151
	v_and_b32_e32 v147, -8, v147
	v_cmp_eq_u32_e32 vcc, 1, v202
	v_sub_u32_e32 v204, v146, v147
	v_cndmask_b32_e32 v146, v123, v125, vcc
	v_cmp_eq_u32_e64 s[0:1], 2, v202
	v_ashrrev_i32_e32 v149, 31, v149
	v_cndmask_b32_e64 v146, v146, v115, s[0:1]
	v_cndmask_b32_e32 v147, v122, v124, vcc
	v_cmp_eq_u32_e64 s[2:3], 3, v202
	v_lshrrev_b32_e32 v149, 29, v149
	v_cndmask_b32_e64 v146, v146, v117, s[2:3]
	v_cndmask_b32_e64 v147, v147, v114, s[0:1]
	v_cmp_eq_u32_e64 s[4:5], 4, v202
	v_add_u32_e32 v149, v148, v149
	v_cndmask_b32_e64 v146, v146, v103, s[4:5]
	v_cndmask_b32_e64 v147, v147, v116, s[2:3]
	v_cmp_eq_u32_e64 s[6:7], 5, v202
	v_and_b32_e32 v149, -8, v149
	v_cndmask_b32_e64 v146, v146, v105, s[6:7]
	v_cndmask_b32_e64 v147, v147, v102, s[4:5]
	v_cmp_eq_u32_e64 s[8:9], 6, v202
	s_waitcnt vmcnt(11)
	v_mul_f64 v[166:167], v[226:227], v[166:167]
	v_sub_u32_e32 v205, v148, v149
	v_cndmask_b32_e64 v146, v146, v75, s[8:9]
	v_cndmask_b32_e64 v148, v147, v104, s[6:7]
	v_cmp_eq_u32_e64 s[10:11], 7, v202
	v_ashrrev_i32_e32 v153, 31, v153
	v_mul_f64 v[168:169], v[226:227], v[168:169]
	v_cndmask_b32_e64 v147, v146, v77, s[10:11]
	v_cndmask_b32_e64 v146, v148, v74, s[8:9]
	v_lshrrev_b32_e32 v153, 29, v153
	s_waitcnt vmcnt(10)
	v_mul_f64 v[162:163], v[226:227], v[162:163]
	v_mul_f64 v[164:165], v[226:227], v[164:165]
	v_add_u32_e32 v153, v152, v153
	v_and_b32_e32 v153, -8, v153
	v_cndmask_b32_e64 v146, v146, v76, s[10:11]
	v_sub_u32_e32 v203, v152, v153
	v_cmp_eq_u32_e64 s[12:13], 0, v202
	s_waitcnt vmcnt(9)
	v_mul_f64 v[158:159], v[226:227], v[158:159]
	v_mul_f64 v[160:161], v[226:227], v[160:161]
	s_waitcnt vmcnt(8)
	v_mul_f64 v[154:155], v[226:227], v[154:155]
	v_mul_f64 v[156:157], v[226:227], v[156:157]
	;; [unrolled: 3-line block ×6, first 2 shown]
	s_waitcnt vmcnt(3)
	v_fma_f64 v[148:149], v[166:167], v[178:179], 0
	v_fma_f64 v[150:151], v[178:179], v[158:159], 0
	;; [unrolled: 1-line block ×3, first 2 shown]
	s_waitcnt vmcnt(2)
	v_fmac_f64_e32 v[148:149], v[168:169], v[180:181]
	v_fmac_f64_e32 v[150:151], v[180:181], v[160:161]
	;; [unrolled: 1-line block ×3, first 2 shown]
	s_waitcnt vmcnt(1)
	v_fmac_f64_e32 v[148:149], v[162:163], v[182:183]
	v_fmac_f64_e32 v[150:151], v[182:183], v[154:155]
	;; [unrolled: 1-line block ×3, first 2 shown]
	s_waitcnt vmcnt(0)
	v_fmac_f64_e32 v[148:149], v[164:165], v[184:185]
	v_add_f64 v[146:147], v[146:147], -v[148:149]
	v_cndmask_b32_e32 v124, v124, v146, vcc
	v_cndmask_b32_e64 v122, v122, v146, s[12:13]
	v_cndmask_b32_e32 v125, v125, v147, vcc
	v_cndmask_b32_e64 v123, v123, v147, s[12:13]
	v_cmp_eq_u32_e32 vcc, 1, v203
	v_cndmask_b32_e64 v76, v76, v146, s[10:11]
	v_cndmask_b32_e64 v148, v74, v146, s[8:9]
	;; [unrolled: 1-line block ×8, first 2 shown]
	v_cndmask_b32_e32 v74, v123, v125, vcc
	v_cndmask_b32_e32 v75, v122, v124, vcc
	v_cmp_eq_u32_e64 s[0:1], 2, v203
	v_cndmask_b32_e64 v117, v117, v147, s[2:3]
	v_cndmask_b32_e64 v74, v74, v115, s[0:1]
	v_cndmask_b32_e64 v75, v75, v114, s[0:1]
	v_cmp_eq_u32_e64 s[2:3], 3, v203
	v_cndmask_b32_e64 v103, v103, v147, s[4:5]
	v_cndmask_b32_e64 v74, v74, v117, s[2:3]
	v_cndmask_b32_e64 v75, v75, v116, s[2:3]
	;; [unrolled: 4-line block ×3, first 2 shown]
	v_cmp_eq_u32_e64 s[6:7], 5, v203
	v_cndmask_b32_e64 v74, v74, v105, s[6:7]
	v_cndmask_b32_e64 v75, v75, v104, s[6:7]
	v_cmp_eq_u32_e64 s[8:9], 6, v203
	v_cndmask_b32_e64 v77, v77, v147, s[10:11]
	v_cndmask_b32_e64 v74, v74, v146, s[8:9]
	;; [unrolled: 1-line block ×3, first 2 shown]
	v_cmp_eq_u32_e64 s[10:11], 7, v203
	v_fmac_f64_e32 v[150:151], v[184:185], v[156:157]
	v_cndmask_b32_e64 v75, v74, v77, s[10:11]
	v_cndmask_b32_e64 v74, v147, v76, s[10:11]
	v_add_f64 v[74:75], v[74:75], -v[150:151]
	v_cmp_eq_u32_e64 s[12:13], 0, v203
	v_cndmask_b32_e32 v124, v124, v74, vcc
	v_cndmask_b32_e64 v122, v122, v74, s[12:13]
	v_cndmask_b32_e32 v125, v125, v75, vcc
	v_cndmask_b32_e64 v123, v123, v75, s[12:13]
	v_cmp_eq_u32_e32 vcc, 1, v204
	v_cndmask_b32_e64 v76, v76, v74, s[10:11]
	v_cndmask_b32_e64 v147, v148, v74, s[8:9]
	v_cndmask_b32_e64 v104, v104, v74, s[6:7]
	v_cndmask_b32_e64 v102, v102, v74, s[4:5]
	v_cndmask_b32_e64 v116, v116, v74, s[2:3]
	v_cndmask_b32_e64 v114, v114, v74, s[0:1]
	v_cndmask_b32_e64 v77, v77, v75, s[10:11]
	v_cndmask_b32_e64 v146, v146, v75, s[8:9]
	v_cndmask_b32_e64 v105, v105, v75, s[6:7]
	v_cndmask_b32_e64 v103, v103, v75, s[4:5]
	v_cndmask_b32_e64 v117, v117, v75, s[2:3]
	v_cndmask_b32_e64 v115, v115, v75, s[0:1]
	v_cndmask_b32_e32 v74, v123, v125, vcc
	v_cndmask_b32_e32 v75, v122, v124, vcc
	v_cmp_eq_u32_e64 s[0:1], 2, v204
	v_cndmask_b32_e64 v74, v74, v115, s[0:1]
	v_cndmask_b32_e64 v75, v75, v114, s[0:1]
	v_cmp_eq_u32_e64 s[2:3], 3, v204
	v_cndmask_b32_e64 v74, v74, v117, s[2:3]
	v_cndmask_b32_e64 v75, v75, v116, s[2:3]
	;; [unrolled: 3-line block ×5, first 2 shown]
	v_cmp_eq_u32_e64 s[10:11], 7, v204
	v_fmac_f64_e32 v[152:153], v[184:185], v[192:193]
	v_cndmask_b32_e64 v75, v74, v77, s[10:11]
	v_cndmask_b32_e64 v74, v148, v76, s[10:11]
	v_add_f64 v[74:75], v[74:75], -v[152:153]
	v_cmp_eq_u32_e64 s[12:13], 0, v204
	v_cndmask_b32_e32 v124, v124, v74, vcc
	v_cndmask_b32_e64 v148, v122, v74, s[12:13]
	v_cndmask_b32_e32 v125, v125, v75, vcc
	v_cndmask_b32_e64 v149, v123, v75, s[12:13]
	v_cmp_eq_u32_e32 vcc, 1, v205
	v_cndmask_b32_e64 v76, v76, v74, s[10:11]
	v_cndmask_b32_e64 v147, v147, v74, s[8:9]
	;; [unrolled: 1-line block ×12, first 2 shown]
	v_cndmask_b32_e32 v74, v149, v125, vcc
	v_cndmask_b32_e32 v75, v148, v124, vcc
	v_cmp_eq_u32_e64 s[0:1], 2, v205
	v_cndmask_b32_e64 v74, v74, v115, s[0:1]
	v_cndmask_b32_e64 v75, v75, v114, s[0:1]
	v_cmp_eq_u32_e64 s[2:3], 3, v205
	v_cndmask_b32_e64 v74, v74, v117, s[2:3]
	v_cndmask_b32_e64 v75, v75, v116, s[2:3]
	v_cmp_eq_u32_e64 s[4:5], 4, v205
	v_fma_f64 v[158:159], v[178:179], v[194:195], 0
	v_cndmask_b32_e64 v74, v74, v103, s[4:5]
	v_cndmask_b32_e64 v75, v75, v102, s[4:5]
	v_cmp_eq_u32_e64 s[6:7], 5, v205
	v_fmac_f64_e32 v[158:159], v[180:181], v[196:197]
	v_cndmask_b32_e64 v74, v74, v105, s[6:7]
	v_cndmask_b32_e64 v75, v75, v104, s[6:7]
	v_cmp_eq_u32_e64 s[8:9], 6, v205
	v_fmac_f64_e32 v[158:159], v[182:183], v[198:199]
	;; [unrolled: 4-line block ×3, first 2 shown]
	v_cndmask_b32_e64 v75, v74, v77, s[10:11]
	v_cndmask_b32_e64 v74, v122, v76, s[10:11]
	v_add_f64 v[122:123], v[74:75], -v[158:159]
	v_cndmask_b32_e32 v125, v125, v123, vcc
	v_cndmask_b32_e32 v124, v124, v122, vcc
	v_cmp_eq_u32_e32 vcc, 0, v205
	v_cndmask_b32_e64 v77, v77, v123, s[10:11]
	v_cndmask_b32_e64 v76, v76, v122, s[10:11]
	;; [unrolled: 1-line block ×12, first 2 shown]
	v_cndmask_b32_e32 v123, v149, v123, vcc
	v_cndmask_b32_e32 v122, v148, v122, vcc
.LBB1_21:                               ;   in Loop: Header=BB1_11 Depth=2
	s_or_b64 exec, exec, s[14:15]
	global_load_dwordx2 v[146:147], v[174:175], off offset:40
	v_mov_b32_e32 v148, s65
	s_waitcnt vmcnt(0)
	v_lshlrev_b64 v[146:147], 3, v[146:147]
	v_add_co_u32_e32 v146, vcc, s64, v146
	v_addc_co_u32_e32 v147, vcc, v148, v147, vcc
	global_load_dwordx2 v[148:149], v[176:177], off offset:40
	s_nop 0
	global_load_dwordx2 v[146:147], v[146:147], off
	s_waitcnt vmcnt(1)
	v_cmp_ne_u64_e32 vcc, 0, v[148:149]
	s_waitcnt vmcnt(0)
	v_cmp_lt_i64_e64 s[0:1], -1, v[146:147]
	s_and_b64 s[0:1], s[0:1], vcc
	s_and_saveexec_b64 s[14:15], s[0:1]
	s_cbranch_execz .LBB1_10
; %bb.22:                               ;   in Loop: Header=BB1_11 Depth=2
	v_lshlrev_b64 v[148:149], 5, v[146:147]
	v_mov_b32_e32 v151, s69
	v_add_co_u32_e32 v150, vcc, s68, v148
	v_addc_co_u32_e32 v151, vcc, v151, v149, vcc
	global_load_dwordx2 v[150:151], v[150:151], off
	v_mov_b32_e32 v156, s72
	v_mov_b32_e32 v157, s68
	;; [unrolled: 1-line block ×9, first 2 shown]
	s_waitcnt vmcnt(0)
	v_ashrrev_i32_e32 v154, 31, v151
	v_lshrrev_b32_e32 v154, 29, v154
	v_add_co_u32_e32 v150, vcc, v150, v154
	v_addc_co_u32_e32 v151, vcc, 0, v151, vcc
	v_ashrrev_i64 v[150:151], 3, v[150:151]
	v_cmp_eq_u64_e32 vcc, v[170:171], v[150:151]
	v_cndmask_b32_e32 v150, v157, v156, vcc
	v_cndmask_b32_e32 v151, v153, v152, vcc
	v_add_co_u32_e64 v150, s[0:1], v150, v148
	v_addc_co_u32_e64 v151, s[0:1], v151, v149, s[0:1]
	global_load_dwordx4 v[174:177], v[150:151], off
	global_load_dwordx4 v[178:181], v[150:151], off offset:16
	v_lshlrev_b64 v[154:155], 8, v[146:147]
	v_cndmask_b32_e32 v146, v156, v157, vcc
	v_cndmask_b32_e32 v158, v152, v153, vcc
	v_cndmask_b32_e64 v147, 0, 1, vcc
	v_add_co_u32_e32 v150, vcc, v146, v148
	v_addc_co_u32_e32 v151, vcc, v158, v149, vcc
	v_lshlrev_b32_e32 v156, 7, v147
	global_load_dwordx4 v[146:149], v[150:151], off offset:16
	s_nop 0
	global_load_dwordx4 v[150:153], v[150:151], off
	v_add_co_u32_e32 v156, vcc, s81, v156
	v_addc_co_u32_e32 v157, vcc, 0, v159, vcc
	v_add_co_u32_e32 v194, vcc, v156, v154
	v_addc_co_u32_e32 v195, vcc, v157, v155, vcc
	global_load_dwordx4 v[166:169], v[194:195], off
	global_load_dwordx4 v[162:165], v[194:195], off offset:16
	global_load_dwordx4 v[158:161], v[194:195], off offset:32
	global_load_dwordx4 v[154:157], v[194:195], off offset:48
	global_load_dwordx4 v[182:185], v[194:195], off offset:64
	global_load_dwordx4 v[186:189], v[194:195], off offset:80
	global_load_dwordx4 v[190:193], v[194:195], off offset:96
	s_nop 0
	global_load_dwordx4 v[194:197], v[194:195], off offset:112
	s_waitcnt vmcnt(11)
	v_lshlrev_b64 v[174:175], 3, v[174:175]
	v_add_co_u32_e32 v174, vcc, s88, v174
	v_lshlrev_b64 v[176:177], 3, v[176:177]
	v_addc_co_u32_e32 v175, vcc, v198, v175, vcc
	v_add_co_u32_e32 v176, vcc, s88, v176
	s_waitcnt vmcnt(10)
	v_lshlrev_b64 v[178:179], 3, v[178:179]
	v_addc_co_u32_e32 v177, vcc, v199, v177, vcc
	v_add_co_u32_e32 v178, vcc, s88, v178
	v_lshlrev_b64 v[180:181], 3, v[180:181]
	global_load_dwordx2 v[174:175], v[174:175], off
	v_addc_co_u32_e32 v179, vcc, v200, v179, vcc
	global_load_dwordx2 v[176:177], v[176:177], off
	v_add_co_u32_e32 v180, vcc, s88, v180
	global_load_dwordx2 v[178:179], v[178:179], off
	v_addc_co_u32_e32 v181, vcc, v201, v181, vcc
	global_load_dwordx2 v[180:181], v[180:181], off
	s_waitcnt vmcnt(12)
	v_ashrrev_i32_e32 v151, 31, v151
	v_lshrrev_b32_e32 v151, 29, v151
	v_ashrrev_i32_e32 v147, 31, v147
	v_add_u32_e32 v151, v150, v151
	v_lshrrev_b32_e32 v147, 29, v147
	v_and_b32_e32 v151, -8, v151
	v_add_u32_e32 v147, v146, v147
	v_sub_u32_e32 v198, v150, v151
	v_and_b32_e32 v147, -8, v147
	v_cmp_eq_u32_e32 vcc, 1, v198
	v_sub_u32_e32 v200, v146, v147
	v_cndmask_b32_e32 v146, v123, v125, vcc
	v_cmp_eq_u32_e64 s[0:1], 2, v198
	v_ashrrev_i32_e32 v149, 31, v149
	v_cndmask_b32_e64 v146, v146, v115, s[0:1]
	v_cndmask_b32_e32 v147, v122, v124, vcc
	v_cmp_eq_u32_e64 s[2:3], 3, v198
	v_lshrrev_b32_e32 v149, 29, v149
	v_cndmask_b32_e64 v146, v146, v117, s[2:3]
	v_cndmask_b32_e64 v147, v147, v114, s[0:1]
	v_cmp_eq_u32_e64 s[4:5], 4, v198
	v_add_u32_e32 v149, v148, v149
	v_cndmask_b32_e64 v146, v146, v103, s[4:5]
	v_cndmask_b32_e64 v147, v147, v116, s[2:3]
	v_cmp_eq_u32_e64 s[6:7], 5, v198
	v_and_b32_e32 v149, -8, v149
	v_cndmask_b32_e64 v146, v146, v105, s[6:7]
	v_cndmask_b32_e64 v147, v147, v102, s[4:5]
	v_cmp_eq_u32_e64 s[8:9], 6, v198
	s_waitcnt vmcnt(11)
	v_mul_f64 v[166:167], v[226:227], v[166:167]
	v_sub_u32_e32 v201, v148, v149
	v_cndmask_b32_e64 v146, v146, v75, s[8:9]
	v_cndmask_b32_e64 v148, v147, v104, s[6:7]
	v_cmp_eq_u32_e64 s[10:11], 7, v198
	v_ashrrev_i32_e32 v153, 31, v153
	v_mul_f64 v[168:169], v[226:227], v[168:169]
	v_cndmask_b32_e64 v147, v146, v77, s[10:11]
	v_cndmask_b32_e64 v146, v148, v74, s[8:9]
	v_lshrrev_b32_e32 v153, 29, v153
	s_waitcnt vmcnt(10)
	v_mul_f64 v[162:163], v[226:227], v[162:163]
	v_mul_f64 v[164:165], v[226:227], v[164:165]
	v_add_u32_e32 v153, v152, v153
	v_and_b32_e32 v153, -8, v153
	v_cndmask_b32_e64 v146, v146, v76, s[10:11]
	v_sub_u32_e32 v199, v152, v153
	v_cmp_eq_u32_e64 s[12:13], 0, v198
	s_waitcnt vmcnt(9)
	v_mul_f64 v[158:159], v[226:227], v[158:159]
	v_mul_f64 v[160:161], v[226:227], v[160:161]
	s_waitcnt vmcnt(8)
	v_mul_f64 v[154:155], v[226:227], v[154:155]
	v_mul_f64 v[156:157], v[226:227], v[156:157]
	;; [unrolled: 3-line block ×6, first 2 shown]
	s_waitcnt vmcnt(3)
	v_fma_f64 v[148:149], v[166:167], v[174:175], 0
	v_fma_f64 v[150:151], v[174:175], v[158:159], 0
	v_fma_f64 v[152:153], v[174:175], v[182:183], 0
	s_waitcnt vmcnt(2)
	v_fmac_f64_e32 v[148:149], v[168:169], v[176:177]
	v_fmac_f64_e32 v[150:151], v[176:177], v[160:161]
	;; [unrolled: 1-line block ×3, first 2 shown]
	s_waitcnt vmcnt(1)
	v_fmac_f64_e32 v[148:149], v[162:163], v[178:179]
	v_fmac_f64_e32 v[150:151], v[178:179], v[154:155]
	;; [unrolled: 1-line block ×3, first 2 shown]
	s_waitcnt vmcnt(0)
	v_fmac_f64_e32 v[148:149], v[164:165], v[180:181]
	v_add_f64 v[146:147], v[146:147], -v[148:149]
	v_cndmask_b32_e32 v124, v124, v146, vcc
	v_cndmask_b32_e64 v122, v122, v146, s[12:13]
	v_cndmask_b32_e32 v125, v125, v147, vcc
	v_cndmask_b32_e64 v123, v123, v147, s[12:13]
	v_cmp_eq_u32_e32 vcc, 1, v199
	v_cndmask_b32_e64 v76, v76, v146, s[10:11]
	v_cndmask_b32_e64 v148, v74, v146, s[8:9]
	;; [unrolled: 1-line block ×8, first 2 shown]
	v_cndmask_b32_e32 v74, v123, v125, vcc
	v_cndmask_b32_e32 v75, v122, v124, vcc
	v_cmp_eq_u32_e64 s[0:1], 2, v199
	v_cndmask_b32_e64 v117, v117, v147, s[2:3]
	v_cndmask_b32_e64 v74, v74, v115, s[0:1]
	v_cndmask_b32_e64 v75, v75, v114, s[0:1]
	v_cmp_eq_u32_e64 s[2:3], 3, v199
	v_cndmask_b32_e64 v103, v103, v147, s[4:5]
	v_cndmask_b32_e64 v74, v74, v117, s[2:3]
	v_cndmask_b32_e64 v75, v75, v116, s[2:3]
	;; [unrolled: 4-line block ×3, first 2 shown]
	v_cmp_eq_u32_e64 s[6:7], 5, v199
	v_cndmask_b32_e64 v74, v74, v105, s[6:7]
	v_cndmask_b32_e64 v75, v75, v104, s[6:7]
	v_cmp_eq_u32_e64 s[8:9], 6, v199
	v_cndmask_b32_e64 v77, v77, v147, s[10:11]
	v_cndmask_b32_e64 v74, v74, v146, s[8:9]
	v_cndmask_b32_e64 v147, v75, v148, s[8:9]
	v_cmp_eq_u32_e64 s[10:11], 7, v199
	v_fmac_f64_e32 v[150:151], v[180:181], v[156:157]
	v_cndmask_b32_e64 v75, v74, v77, s[10:11]
	v_cndmask_b32_e64 v74, v147, v76, s[10:11]
	v_add_f64 v[74:75], v[74:75], -v[150:151]
	v_cmp_eq_u32_e64 s[12:13], 0, v199
	v_cndmask_b32_e32 v124, v124, v74, vcc
	v_cndmask_b32_e64 v122, v122, v74, s[12:13]
	v_cndmask_b32_e32 v125, v125, v75, vcc
	v_cndmask_b32_e64 v123, v123, v75, s[12:13]
	v_cmp_eq_u32_e32 vcc, 1, v200
	v_cndmask_b32_e64 v76, v76, v74, s[10:11]
	v_cndmask_b32_e64 v147, v148, v74, s[8:9]
	;; [unrolled: 1-line block ×12, first 2 shown]
	v_cndmask_b32_e32 v74, v123, v125, vcc
	v_cndmask_b32_e32 v75, v122, v124, vcc
	v_cmp_eq_u32_e64 s[0:1], 2, v200
	v_cndmask_b32_e64 v74, v74, v115, s[0:1]
	v_cndmask_b32_e64 v75, v75, v114, s[0:1]
	v_cmp_eq_u32_e64 s[2:3], 3, v200
	v_cndmask_b32_e64 v74, v74, v117, s[2:3]
	v_cndmask_b32_e64 v75, v75, v116, s[2:3]
	v_cmp_eq_u32_e64 s[4:5], 4, v200
	v_cndmask_b32_e64 v74, v74, v103, s[4:5]
	v_cndmask_b32_e64 v75, v75, v102, s[4:5]
	v_cmp_eq_u32_e64 s[6:7], 5, v200
	v_cndmask_b32_e64 v74, v74, v105, s[6:7]
	v_cndmask_b32_e64 v75, v75, v104, s[6:7]
	v_cmp_eq_u32_e64 s[8:9], 6, v200
	v_cndmask_b32_e64 v74, v74, v146, s[8:9]
	v_cndmask_b32_e64 v148, v75, v147, s[8:9]
	v_cmp_eq_u32_e64 s[10:11], 7, v200
	v_fmac_f64_e32 v[152:153], v[180:181], v[188:189]
	v_cndmask_b32_e64 v75, v74, v77, s[10:11]
	v_cndmask_b32_e64 v74, v148, v76, s[10:11]
	v_add_f64 v[74:75], v[74:75], -v[152:153]
	v_cmp_eq_u32_e64 s[12:13], 0, v200
	v_cndmask_b32_e32 v124, v124, v74, vcc
	v_cndmask_b32_e64 v148, v122, v74, s[12:13]
	v_cndmask_b32_e32 v125, v125, v75, vcc
	v_cndmask_b32_e64 v149, v123, v75, s[12:13]
	v_cmp_eq_u32_e32 vcc, 1, v201
	v_cndmask_b32_e64 v76, v76, v74, s[10:11]
	v_cndmask_b32_e64 v147, v147, v74, s[8:9]
	;; [unrolled: 1-line block ×12, first 2 shown]
	v_cndmask_b32_e32 v74, v149, v125, vcc
	v_cndmask_b32_e32 v75, v148, v124, vcc
	v_cmp_eq_u32_e64 s[0:1], 2, v201
	v_cndmask_b32_e64 v74, v74, v115, s[0:1]
	v_cndmask_b32_e64 v75, v75, v114, s[0:1]
	v_cmp_eq_u32_e64 s[2:3], 3, v201
	v_cndmask_b32_e64 v74, v74, v117, s[2:3]
	v_cndmask_b32_e64 v75, v75, v116, s[2:3]
	v_cmp_eq_u32_e64 s[4:5], 4, v201
	v_fma_f64 v[158:159], v[174:175], v[190:191], 0
	v_cndmask_b32_e64 v74, v74, v103, s[4:5]
	v_cndmask_b32_e64 v75, v75, v102, s[4:5]
	v_cmp_eq_u32_e64 s[6:7], 5, v201
	v_fmac_f64_e32 v[158:159], v[176:177], v[192:193]
	v_cndmask_b32_e64 v74, v74, v105, s[6:7]
	v_cndmask_b32_e64 v75, v75, v104, s[6:7]
	v_cmp_eq_u32_e64 s[8:9], 6, v201
	v_fmac_f64_e32 v[158:159], v[178:179], v[194:195]
	;; [unrolled: 4-line block ×3, first 2 shown]
	v_cndmask_b32_e64 v75, v74, v77, s[10:11]
	v_cndmask_b32_e64 v74, v122, v76, s[10:11]
	v_add_f64 v[122:123], v[74:75], -v[158:159]
	v_cndmask_b32_e32 v125, v125, v123, vcc
	v_cndmask_b32_e32 v124, v124, v122, vcc
	v_cmp_eq_u32_e32 vcc, 0, v201
	v_cndmask_b32_e64 v77, v77, v123, s[10:11]
	v_cndmask_b32_e64 v76, v76, v122, s[10:11]
	;; [unrolled: 1-line block ×12, first 2 shown]
	v_cndmask_b32_e32 v123, v149, v123, vcc
	v_cndmask_b32_e32 v122, v148, v122, vcc
	s_branch .LBB1_10
.LBB1_23:
	s_endpgm
	.section	.rodata,"a",@progbits
	.p2align	6, 0x0
	.amdhsa_kernel _ZN4RAJA34launch_new_reduce_global_fcn_fixedIZN8rajaperf4apps8FEMSWEEP17runHipVariantImplILm64EEEvNS1_9VariantIDEEUlNS_14LaunchContextTINS_3hip33LaunchContextIndicesAndDimsPolicyINS7_14IndicesAndDimsILb0ELb0ELb0ELb0EEEEEEEE_Li64ENS_4expt15ForallParamPackIJEEEEEvT_T1_
		.amdhsa_group_segment_fixed_size 0
		.amdhsa_private_segment_fixed_size 0
		.amdhsa_kernarg_size 156
		.amdhsa_user_sgpr_count 6
		.amdhsa_user_sgpr_private_segment_buffer 1
		.amdhsa_user_sgpr_dispatch_ptr 0
		.amdhsa_user_sgpr_queue_ptr 0
		.amdhsa_user_sgpr_kernarg_segment_ptr 1
		.amdhsa_user_sgpr_dispatch_id 0
		.amdhsa_user_sgpr_flat_scratch_init 0
		.amdhsa_user_sgpr_kernarg_preload_length 0
		.amdhsa_user_sgpr_kernarg_preload_offset 0
		.amdhsa_user_sgpr_private_segment_size 0
		.amdhsa_uses_dynamic_stack 0
		.amdhsa_system_sgpr_private_segment_wavefront_offset 0
		.amdhsa_system_sgpr_workgroup_id_x 1
		.amdhsa_system_sgpr_workgroup_id_y 1
		.amdhsa_system_sgpr_workgroup_id_z 0
		.amdhsa_system_sgpr_workgroup_info 0
		.amdhsa_system_vgpr_workitem_id 0
		.amdhsa_next_free_vgpr 253
		.amdhsa_next_free_sgpr 96
		.amdhsa_accum_offset 256
		.amdhsa_reserve_vcc 1
		.amdhsa_reserve_flat_scratch 0
		.amdhsa_float_round_mode_32 0
		.amdhsa_float_round_mode_16_64 0
		.amdhsa_float_denorm_mode_32 3
		.amdhsa_float_denorm_mode_16_64 3
		.amdhsa_dx10_clamp 1
		.amdhsa_ieee_mode 1
		.amdhsa_fp16_overflow 0
		.amdhsa_tg_split 0
		.amdhsa_exception_fp_ieee_invalid_op 0
		.amdhsa_exception_fp_denorm_src 0
		.amdhsa_exception_fp_ieee_div_zero 0
		.amdhsa_exception_fp_ieee_overflow 0
		.amdhsa_exception_fp_ieee_underflow 0
		.amdhsa_exception_fp_ieee_inexact 0
		.amdhsa_exception_int_div_zero 0
	.end_amdhsa_kernel
	.section	.text._ZN4RAJA34launch_new_reduce_global_fcn_fixedIZN8rajaperf4apps8FEMSWEEP17runHipVariantImplILm64EEEvNS1_9VariantIDEEUlNS_14LaunchContextTINS_3hip33LaunchContextIndicesAndDimsPolicyINS7_14IndicesAndDimsILb0ELb0ELb0ELb0EEEEEEEE_Li64ENS_4expt15ForallParamPackIJEEEEEvT_T1_,"axG",@progbits,_ZN4RAJA34launch_new_reduce_global_fcn_fixedIZN8rajaperf4apps8FEMSWEEP17runHipVariantImplILm64EEEvNS1_9VariantIDEEUlNS_14LaunchContextTINS_3hip33LaunchContextIndicesAndDimsPolicyINS7_14IndicesAndDimsILb0ELb0ELb0ELb0EEEEEEEE_Li64ENS_4expt15ForallParamPackIJEEEEEvT_T1_,comdat
.Lfunc_end1:
	.size	_ZN4RAJA34launch_new_reduce_global_fcn_fixedIZN8rajaperf4apps8FEMSWEEP17runHipVariantImplILm64EEEvNS1_9VariantIDEEUlNS_14LaunchContextTINS_3hip33LaunchContextIndicesAndDimsPolicyINS7_14IndicesAndDimsILb0ELb0ELb0ELb0EEEEEEEE_Li64ENS_4expt15ForallParamPackIJEEEEEvT_T1_, .Lfunc_end1-_ZN4RAJA34launch_new_reduce_global_fcn_fixedIZN8rajaperf4apps8FEMSWEEP17runHipVariantImplILm64EEEvNS1_9VariantIDEEUlNS_14LaunchContextTINS_3hip33LaunchContextIndicesAndDimsPolicyINS7_14IndicesAndDimsILb0ELb0ELb0ELb0EEEEEEEE_Li64ENS_4expt15ForallParamPackIJEEEEEvT_T1_
                                        ; -- End function
	.section	.AMDGPU.csdata,"",@progbits
; Kernel info:
; codeLenInByte = 19256
; NumSgprs: 100
; NumVgprs: 253
; NumAgprs: 0
; TotalNumVgprs: 253
; ScratchSize: 0
; MemoryBound: 0
; FloatMode: 240
; IeeeMode: 1
; LDSByteSize: 0 bytes/workgroup (compile time only)
; SGPRBlocks: 12
; VGPRBlocks: 31
; NumSGPRsForWavesPerEU: 100
; NumVGPRsForWavesPerEU: 253
; AccumOffset: 256
; Occupancy: 2
; WaveLimiterHint : 1
; COMPUTE_PGM_RSRC2:SCRATCH_EN: 0
; COMPUTE_PGM_RSRC2:USER_SGPR: 6
; COMPUTE_PGM_RSRC2:TRAP_HANDLER: 0
; COMPUTE_PGM_RSRC2:TGID_X_EN: 1
; COMPUTE_PGM_RSRC2:TGID_Y_EN: 1
; COMPUTE_PGM_RSRC2:TGID_Z_EN: 0
; COMPUTE_PGM_RSRC2:TIDIG_COMP_CNT: 0
; COMPUTE_PGM_RSRC3_GFX90A:ACCUM_OFFSET: 63
; COMPUTE_PGM_RSRC3_GFX90A:TG_SPLIT: 0
	.text
	.p2alignl 6, 3212836864
	.fill 256, 4, 3212836864
	.type	__hip_cuid_2d1699d1f43c93eb,@object ; @__hip_cuid_2d1699d1f43c93eb
	.section	.bss,"aw",@nobits
	.globl	__hip_cuid_2d1699d1f43c93eb
__hip_cuid_2d1699d1f43c93eb:
	.byte	0                               ; 0x0
	.size	__hip_cuid_2d1699d1f43c93eb, 1

	.ident	"AMD clang version 19.0.0git (https://github.com/RadeonOpenCompute/llvm-project roc-6.4.0 25133 c7fe45cf4b819c5991fe208aaa96edf142730f1d)"
	.section	".note.GNU-stack","",@progbits
	.addrsig
	.addrsig_sym __hip_cuid_2d1699d1f43c93eb
	.amdgpu_metadata
---
amdhsa.kernels:
  - .agpr_count:     0
    .args:
      - .address_space:  global
        .offset:         0
        .size:           8
        .value_kind:     global_buffer
      - .address_space:  global
        .offset:         8
        .size:           8
        .value_kind:     global_buffer
      - .address_space:  global
        .offset:         16
        .size:           8
        .value_kind:     global_buffer
      - .address_space:  global
        .offset:         24
        .size:           8
        .value_kind:     global_buffer
      - .address_space:  global
        .offset:         32
        .size:           8
        .value_kind:     global_buffer
      - .address_space:  global
        .offset:         40
        .size:           8
        .value_kind:     global_buffer
      - .offset:         48
        .size:           8
        .value_kind:     by_value
      - .offset:         56
        .size:           8
        .value_kind:     by_value
      - .offset:         64
        .size:           8
        .value_kind:     by_value
      - .address_space:  global
        .offset:         72
        .size:           8
        .value_kind:     global_buffer
      - .address_space:  global
        .offset:         80
        .size:           8
        .value_kind:     global_buffer
      - .address_space:  global
        .offset:         88
        .size:           8
        .value_kind:     global_buffer
      - .address_space:  global
        .offset:         96
        .size:           8
        .value_kind:     global_buffer
      - .address_space:  global
        .offset:         104
        .size:           8
        .value_kind:     global_buffer
      - .address_space:  global
        .offset:         112
        .size:           8
        .value_kind:     global_buffer
      - .address_space:  global
        .offset:         120
        .size:           8
        .value_kind:     global_buffer
      - .address_space:  global
        .offset:         128
        .size:           8
        .value_kind:     global_buffer
      - .address_space:  global
        .offset:         136
        .size:           8
        .value_kind:     global_buffer
    .group_segment_fixed_size: 0
    .kernarg_segment_align: 8
    .kernarg_segment_size: 144
    .language:       OpenCL C
    .language_version:
      - 2
      - 0
    .max_flat_workgroup_size: 64
    .name:           _ZN8rajaperf4apps10FEMSweep3DILm64EEEvPdS2_S2_S2_S2_S2_lllPlS3_S3_S3_S3_S3_S3_S3_S3_
    .private_segment_fixed_size: 0
    .sgpr_count:     62
    .sgpr_spill_count: 0
    .symbol:         _ZN8rajaperf4apps10FEMSweep3DILm64EEEvPdS2_S2_S2_S2_S2_lllPlS3_S3_S3_S3_S3_S3_S3_S3_.kd
    .uniform_work_group_size: 1
    .uses_dynamic_stack: false
    .vgpr_count:     215
    .vgpr_spill_count: 0
    .wavefront_size: 64
  - .agpr_count:     0
    .args:
      - .offset:         0
        .size:           152
        .value_kind:     by_value
      - .offset:         152
        .size:           1
        .value_kind:     by_value
    .group_segment_fixed_size: 0
    .kernarg_segment_align: 8
    .kernarg_segment_size: 156
    .language:       OpenCL C
    .language_version:
      - 2
      - 0
    .max_flat_workgroup_size: 64
    .name:           _ZN4RAJA34launch_new_reduce_global_fcn_fixedIZN8rajaperf4apps8FEMSWEEP17runHipVariantImplILm64EEEvNS1_9VariantIDEEUlNS_14LaunchContextTINS_3hip33LaunchContextIndicesAndDimsPolicyINS7_14IndicesAndDimsILb0ELb0ELb0ELb0EEEEEEEE_Li64ENS_4expt15ForallParamPackIJEEEEEvT_T1_
    .private_segment_fixed_size: 0
    .sgpr_count:     100
    .sgpr_spill_count: 5
    .symbol:         _ZN4RAJA34launch_new_reduce_global_fcn_fixedIZN8rajaperf4apps8FEMSWEEP17runHipVariantImplILm64EEEvNS1_9VariantIDEEUlNS_14LaunchContextTINS_3hip33LaunchContextIndicesAndDimsPolicyINS7_14IndicesAndDimsILb0ELb0ELb0ELb0EEEEEEEE_Li64ENS_4expt15ForallParamPackIJEEEEEvT_T1_.kd
    .uniform_work_group_size: 1
    .uses_dynamic_stack: false
    .vgpr_count:     253
    .vgpr_spill_count: 0
    .wavefront_size: 64
amdhsa.target:   amdgcn-amd-amdhsa--gfx90a
amdhsa.version:
  - 1
  - 2
...

	.end_amdgpu_metadata
